;; amdgpu-corpus repo=ROCm/rocFFT kind=compiled arch=gfx1201 opt=O3
	.text
	.amdgcn_target "amdgcn-amd-amdhsa--gfx1201"
	.amdhsa_code_object_version 6
	.protected	bluestein_single_back_len1365_dim1_dp_op_CI_CI ; -- Begin function bluestein_single_back_len1365_dim1_dp_op_CI_CI
	.globl	bluestein_single_back_len1365_dim1_dp_op_CI_CI
	.p2align	8
	.type	bluestein_single_back_len1365_dim1_dp_op_CI_CI,@function
bluestein_single_back_len1365_dim1_dp_op_CI_CI: ; @bluestein_single_back_len1365_dim1_dp_op_CI_CI
; %bb.0:
	s_load_b128 s[12:15], s[0:1], 0x28
	v_mul_u32_u24_e32 v1, 0x2d1, v0
	v_mov_b32_e32 v7, 0
	s_mov_b32 s2, exec_lo
	s_delay_alu instid0(VALU_DEP_2) | instskip(NEXT) | instid1(VALU_DEP_1)
	v_lshrrev_b32_e32 v3, 16, v1
	v_lshl_add_u32 v6, ttmp9, 1, v3
	s_wait_kmcnt 0x0
	s_delay_alu instid0(VALU_DEP_1)
	v_cmpx_gt_u64_e64 s[12:13], v[6:7]
	s_cbranch_execz .LBB0_23
; %bb.1:
	s_clause 0x1
	s_load_b128 s[4:7], s[0:1], 0x18
	s_load_b64 s[12:13], s[0:1], 0x0
	v_mul_lo_u16 v1, 0x5b, v3
	v_and_b32_e32 v3, 1, v3
	v_mov_b32_e32 v7, v6
	s_delay_alu instid0(VALU_DEP_3)
	v_sub_nc_u16 v2, v0, v1
	scratch_store_b64 off, v[7:8], off offset:176 ; 8-byte Folded Spill
	v_and_b32_e32 v148, 0xffff, v2
	s_wait_kmcnt 0x0
	s_load_b128 s[8:11], s[4:5], 0x0
	s_wait_kmcnt 0x0
	v_mad_co_u64_u32 v[0:1], null, s10, v6, 0
	v_mad_co_u64_u32 v[4:5], null, s8, v148, 0
	s_mul_u64 s[2:3], s[8:9], 0x69
	s_delay_alu instid0(VALU_DEP_2) | instskip(NEXT) | instid1(VALU_DEP_1)
	v_mad_co_u64_u32 v[6:7], null, s11, v6, v[1:2]
	v_dual_mov_b32 v1, v6 :: v_dual_lshlrev_b32 v152, 4, v148
	s_delay_alu instid0(VALU_DEP_3)
	v_mad_co_u64_u32 v[7:8], null, s9, v148, v[5:6]
	s_clause 0x5
	global_load_b128 v[108:111], v152, s[12:13]
	global_load_b128 v[112:115], v152, s[12:13] offset:1680
	global_load_b128 v[116:119], v152, s[12:13] offset:3360
	;; [unrolled: 1-line block ×5, first 2 shown]
	v_lshlrev_b64_e32 v[0:1], 4, v[0:1]
	s_clause 0x3
	global_load_b128 v[132:135], v152, s[12:13] offset:10080
	global_load_b128 v[136:139], v152, s[12:13] offset:11760
	;; [unrolled: 1-line block ×4, first 2 shown]
	v_mov_b32_e32 v5, v7
	v_add_co_u32 v0, vcc_lo, s14, v0
	v_add_co_ci_u32_e32 v1, vcc_lo, s15, v1, vcc_lo
	s_delay_alu instid0(VALU_DEP_3) | instskip(SKIP_1) | instid1(VALU_DEP_1)
	v_lshlrev_b64_e32 v[4:5], 4, v[4:5]
	s_lshl_b64 s[14:15], s[2:3], 4
	v_add_co_u32 v0, vcc_lo, v0, v4
	s_wait_alu 0xfffd
	s_delay_alu instid0(VALU_DEP_2) | instskip(SKIP_1) | instid1(VALU_DEP_2)
	v_add_co_ci_u32_e32 v1, vcc_lo, v1, v5, vcc_lo
	s_wait_alu 0xfffe
	v_add_co_u32 v8, vcc_lo, v0, s14
	s_wait_alu 0xfffd
	s_delay_alu instid0(VALU_DEP_2) | instskip(NEXT) | instid1(VALU_DEP_2)
	v_add_co_ci_u32_e32 v9, vcc_lo, s15, v1, vcc_lo
	v_add_co_u32 v12, vcc_lo, v8, s14
	s_wait_alu 0xfffd
	s_delay_alu instid0(VALU_DEP_2)
	v_add_co_ci_u32_e32 v13, vcc_lo, s15, v9, vcc_lo
	s_clause 0x1
	global_load_b128 v[4:7], v[0:1], off
	global_load_b128 v[8:11], v[8:9], off
	v_add_co_u32 v16, vcc_lo, v12, s14
	s_wait_alu 0xfffd
	v_add_co_ci_u32_e32 v17, vcc_lo, s15, v13, vcc_lo
	s_delay_alu instid0(VALU_DEP_2) | instskip(SKIP_1) | instid1(VALU_DEP_2)
	v_add_co_u32 v0, vcc_lo, v16, s14
	s_wait_alu 0xfffd
	v_add_co_ci_u32_e32 v1, vcc_lo, s15, v17, vcc_lo
	s_clause 0x1
	global_load_b128 v[12:15], v[12:13], off
	global_load_b128 v[16:19], v[16:17], off
	v_add_co_u32 v24, vcc_lo, v0, s14
	s_wait_alu 0xfffd
	v_add_co_ci_u32_e32 v25, vcc_lo, s15, v1, vcc_lo
	global_load_b128 v[20:23], v[0:1], off
	v_add_co_u32 v0, vcc_lo, v24, s14
	s_wait_alu 0xfffd
	v_add_co_ci_u32_e32 v1, vcc_lo, s15, v25, vcc_lo
	;; [unrolled: 4-line block ×8, first 2 shown]
	s_clause 0x1
	global_load_b128 v[157:160], v152, s[12:13] offset:16800
	global_load_b128 v[153:156], v152, s[12:13] offset:18480
	global_load_b128 v[48:51], v[48:49], off
	global_load_b128 v[161:164], v152, s[12:13] offset:20160
	global_load_b128 v[52:55], v[0:1], off
	v_cmp_eq_u32_e32 vcc_lo, 1, v3
	s_wait_alu 0xfffd
	v_cndmask_b32_e64 v3, 0, 0x555, vcc_lo
	v_cmp_gt_u16_e32 vcc_lo, 14, v2
	s_delay_alu instid0(VALU_DEP_2) | instskip(NEXT) | instid1(VALU_DEP_1)
	v_lshlrev_b32_e32 v203, 4, v3
	v_add_nc_u32_e32 v180, v203, v152
	s_wait_loadcnt 0x17
	scratch_store_b128 off, v[116:119], off offset:48 ; 16-byte Folded Spill
	s_wait_loadcnt 0x16
	s_clause 0x2
	scratch_store_b128 off, v[120:123], off offset:64
	scratch_store_b128 off, v[108:111], off offset:16
	;; [unrolled: 1-line block ×3, first 2 shown]
	s_wait_loadcnt 0x15
	scratch_store_b128 off, v[124:127], off offset:80 ; 16-byte Folded Spill
	s_wait_loadcnt 0x14
	scratch_store_b128 off, v[128:131], off offset:96 ; 16-byte Folded Spill
	;; [unrolled: 2-line block ×6, first 2 shown]
	s_wait_loadcnt 0xf
	v_mul_f64_e32 v[56:57], v[6:7], v[110:111]
	v_mul_f64_e32 v[58:59], v[4:5], v[110:111]
	s_wait_loadcnt 0xe
	v_mul_f64_e32 v[60:61], v[10:11], v[114:115]
	v_mul_f64_e32 v[62:63], v[8:9], v[114:115]
	;; [unrolled: 3-line block ×9, first 2 shown]
	v_fma_f64 v[4:5], v[4:5], v[108:109], v[56:57]
	v_fma_f64 v[6:7], v[6:7], v[108:109], -v[58:59]
	v_fma_f64 v[8:9], v[8:9], v[112:113], v[60:61]
	s_wait_loadcnt 0x6
	v_mul_f64_e32 v[92:93], v[42:43], v[146:147]
	v_mul_f64_e32 v[94:95], v[40:41], v[146:147]
	v_fma_f64 v[10:11], v[10:11], v[112:113], -v[62:63]
	v_add_co_u32 v56, s2, s12, v152
	s_delay_alu instid0(VALU_DEP_1)
	v_add_co_ci_u32_e64 v57, null, s13, 0, s2
	s_wait_loadcnt 0x4
	v_mul_f64_e32 v[96:97], v[46:47], v[159:160]
	v_mul_f64_e32 v[98:99], v[44:45], v[159:160]
	s_wait_loadcnt 0x2
	v_mul_f64_e32 v[100:101], v[50:51], v[155:156]
	v_mul_f64_e32 v[102:103], v[48:49], v[155:156]
	;; [unrolled: 3-line block ×3, first 2 shown]
	v_fma_f64 v[12:13], v[12:13], v[116:117], v[64:65]
	v_fma_f64 v[14:15], v[14:15], v[116:117], -v[66:67]
	v_fma_f64 v[16:17], v[16:17], v[120:121], v[68:69]
	v_fma_f64 v[18:19], v[18:19], v[120:121], -v[70:71]
	;; [unrolled: 2-line block ×4, first 2 shown]
	s_clause 0x1
	scratch_store_b128 off, v[157:160], off offset:200
	scratch_store_b128 off, v[153:156], off offset:184
	v_fma_f64 v[28:29], v[28:29], v[132:133], v[80:81]
	v_fma_f64 v[30:31], v[30:31], v[132:133], -v[82:83]
	scratch_store_b128 off, v[161:164], off offset:216 ; 16-byte Folded Spill
	s_load_b64 s[10:11], s[0:1], 0x38
	s_load_b128 s[4:7], s[6:7], 0x0
	scratch_store_b64 off, v[56:57], off    ; 8-byte Folded Spill
	v_fma_f64 v[32:33], v[32:33], v[136:137], v[84:85]
	v_fma_f64 v[34:35], v[34:35], v[136:137], -v[86:87]
	ds_store_b128 v180, v[4:7]
	ds_store_b128 v180, v[8:11] offset:1680
	ds_store_b128 v180, v[12:15] offset:3360
	;; [unrolled: 1-line block ×7, first 2 shown]
	v_fma_f64 v[36:37], v[36:37], v[140:141], v[88:89]
	v_fma_f64 v[38:39], v[38:39], v[140:141], -v[90:91]
	v_fma_f64 v[40:41], v[40:41], v[144:145], v[92:93]
	v_fma_f64 v[42:43], v[42:43], v[144:145], -v[94:95]
	;; [unrolled: 2-line block ×5, first 2 shown]
	ds_store_b128 v180, v[36:39] offset:13440
	ds_store_b128 v180, v[40:43] offset:15120
	;; [unrolled: 1-line block ×5, first 2 shown]
	s_and_saveexec_b32 s3, vcc_lo
	s_cbranch_execz .LBB0_3
; %bb.2:
	scratch_load_b64 v[96:97], off, off     ; 8-byte Folded Reload
	v_mad_co_u64_u32 v[32:33], null, 0xffffb6f0, s8, v[0:1]
	s_mul_i32 s2, s9, 0xffffb6f0
	s_wait_loadcnt 0x0
	s_clause 0x1
	global_load_b128 v[0:3], v[96:97], off offset:1456
	global_load_b128 v[4:7], v[96:97], off offset:3136
	s_wait_alu 0xfffe
	s_sub_co_i32 s2, s2, s8
	s_clause 0x1
	global_load_b128 v[8:11], v[96:97], off offset:4816
	global_load_b128 v[12:15], v[96:97], off offset:6496
	s_wait_alu 0xfffe
	v_add_nc_u32_e32 v33, s2, v33
	v_add_co_u32 v36, s2, v32, s14
	s_clause 0x3
	global_load_b128 v[16:19], v[96:97], off offset:8176
	global_load_b128 v[20:23], v[96:97], off offset:9856
	;; [unrolled: 1-line block ×4, first 2 shown]
	s_wait_alu 0xf1ff
	v_add_co_ci_u32_e64 v37, s2, s15, v33, s2
	v_add_co_u32 v40, s2, v36, s14
	global_load_b128 v[32:35], v[32:33], off
	s_wait_alu 0xf1ff
	v_add_co_ci_u32_e64 v41, s2, s15, v37, s2
	v_add_co_u32 v44, s2, v40, s14
	global_load_b128 v[36:39], v[36:37], off
	;; [unrolled: 4-line block ×5, first 2 shown]
	s_wait_alu 0xf1ff
	v_add_co_ci_u32_e64 v57, s2, s15, v53, s2
	v_add_co_u32 v60, s2, v56, s14
	s_wait_alu 0xf1ff
	s_delay_alu instid0(VALU_DEP_2) | instskip(NEXT) | instid1(VALU_DEP_2)
	v_add_co_ci_u32_e64 v61, s2, s15, v57, s2
	v_add_co_u32 v64, s2, v60, s14
	s_wait_alu 0xf1ff
	s_delay_alu instid0(VALU_DEP_2) | instskip(NEXT) | instid1(VALU_DEP_2)
	;; [unrolled: 4-line block ×3, first 2 shown]
	v_add_co_ci_u32_e64 v73, s2, s15, v65, s2
	v_add_co_u32 v80, s2, v72, s14
	global_load_b128 v[52:55], v[52:53], off
	global_load_b128 v[56:59], v[56:57], off
	global_load_b128 v[60:63], v[60:61], off
	global_load_b128 v[64:67], v[64:65], off
	global_load_b128 v[68:71], v[72:73], off
	s_wait_alu 0xf1ff
	v_add_co_ci_u32_e64 v81, s2, s15, v73, s2
	v_add_co_u32 v88, s2, v80, s14
	s_clause 0x1
	global_load_b128 v[72:75], v[96:97], off offset:14896
	global_load_b128 v[76:79], v[96:97], off offset:16576
	s_wait_alu 0xf1ff
	v_add_co_ci_u32_e64 v89, s2, s15, v81, s2
	v_add_co_u32 v100, s2, v88, s14
	global_load_b128 v[80:83], v[80:81], off
	s_wait_alu 0xf1ff
	v_add_co_ci_u32_e64 v101, s2, s15, v89, s2
	global_load_b128 v[84:87], v[96:97], off offset:18256
	global_load_b128 v[88:91], v[88:89], off
	s_clause 0x1
	global_load_b128 v[92:95], v[96:97], off offset:19936
	global_load_b128 v[96:99], v[96:97], off offset:21616
	global_load_b128 v[100:103], v[100:101], off
	s_wait_loadcnt 0x11
	v_mul_f64_e32 v[104:105], v[34:35], v[2:3]
	v_mul_f64_e32 v[2:3], v[32:33], v[2:3]
	s_wait_loadcnt 0x10
	v_mul_f64_e32 v[106:107], v[38:39], v[6:7]
	v_mul_f64_e32 v[6:7], v[36:37], v[6:7]
	;; [unrolled: 3-line block ×8, first 2 shown]
	v_fma_f64 v[30:31], v[32:33], v[0:1], v[104:105]
	v_fma_f64 v[32:33], v[34:35], v[0:1], -v[2:3]
	s_wait_loadcnt 0x7
	v_mul_f64_e32 v[122:123], v[66:67], v[74:75]
	v_mul_f64_e32 v[74:75], v[64:65], v[74:75]
	s_wait_loadcnt 0x6
	v_mul_f64_e32 v[124:125], v[70:71], v[78:79]
	v_mul_f64_e32 v[78:79], v[68:69], v[78:79]
	v_fma_f64 v[0:1], v[36:37], v[4:5], v[106:107]
	v_fma_f64 v[2:3], v[38:39], v[4:5], -v[6:7]
	s_wait_loadcnt 0x4
	v_mul_f64_e32 v[126:127], v[82:83], v[86:87]
	v_mul_f64_e32 v[86:87], v[80:81], v[86:87]
	s_wait_loadcnt 0x2
	v_mul_f64_e32 v[128:129], v[90:91], v[94:95]
	v_mul_f64_e32 v[94:95], v[88:89], v[94:95]
	;; [unrolled: 3-line block ×3, first 2 shown]
	v_fma_f64 v[4:5], v[40:41], v[8:9], v[108:109]
	v_fma_f64 v[6:7], v[42:43], v[8:9], -v[10:11]
	v_fma_f64 v[8:9], v[44:45], v[12:13], v[110:111]
	v_fma_f64 v[10:11], v[46:47], v[12:13], -v[14:15]
	;; [unrolled: 2-line block ×11, first 2 shown]
	ds_store_b128 v180, v[30:33] offset:1456
	ds_store_b128 v180, v[0:3] offset:3136
	;; [unrolled: 1-line block ×13, first 2 shown]
.LBB0_3:
	s_wait_alu 0xfffe
	s_or_b32 exec_lo, exec_lo, s3
	scratch_store_b32 off, v148, off offset:8 ; 4-byte Folded Spill
	global_wb scope:SCOPE_SE
	s_wait_storecnt_dscnt 0x0
	s_wait_kmcnt 0x0
	s_barrier_signal -1
	s_barrier_wait -1
	global_inv scope:SCOPE_SE
	ds_load_b128 v[0:3], v180
	ds_load_b128 v[8:11], v180 offset:1680
	ds_load_b128 v[16:19], v180 offset:3360
	ds_load_b128 v[24:27], v180 offset:5040
	ds_load_b128 v[32:35], v180 offset:6720
	ds_load_b128 v[40:43], v180 offset:8400
	ds_load_b128 v[80:83], v180 offset:10080
	ds_load_b128 v[76:79], v180 offset:11760
	ds_load_b128 v[36:39], v180 offset:13440
	ds_load_b128 v[28:31], v180 offset:15120
	ds_load_b128 v[20:23], v180 offset:16800
	ds_load_b128 v[12:15], v180 offset:18480
	ds_load_b128 v[4:7], v180 offset:20160
                                        ; implicit-def: $vgpr52_vgpr53
                                        ; implicit-def: $vgpr56_vgpr57
                                        ; implicit-def: $vgpr60_vgpr61
                                        ; implicit-def: $vgpr64_vgpr65
                                        ; implicit-def: $vgpr68_vgpr69
                                        ; implicit-def: $vgpr72_vgpr73
                                        ; implicit-def: $vgpr96_vgpr97
                                        ; implicit-def: $vgpr100_vgpr101
                                        ; implicit-def: $vgpr104_vgpr105
                                        ; implicit-def: $vgpr108_vgpr109
                                        ; implicit-def: $vgpr112_vgpr113
                                        ; implicit-def: $vgpr116_vgpr117
                                        ; implicit-def: $vgpr120_vgpr121
	s_and_saveexec_b32 s2, vcc_lo
	s_cbranch_execz .LBB0_5
; %bb.4:
	ds_load_b128 v[52:55], v180 offset:1456
	ds_load_b128 v[56:59], v180 offset:3136
	;; [unrolled: 1-line block ×13, first 2 shown]
.LBB0_5:
	s_wait_alu 0xfffe
	s_or_b32 exec_lo, exec_lo, s2
	s_wait_dscnt 0xb
	v_add_f64_e32 v[44:45], v[0:1], v[8:9]
	v_add_f64_e32 v[46:47], v[2:3], v[10:11]
	s_wait_dscnt 0x5
	v_add_f64_e32 v[84:85], v[80:81], v[76:77]
	v_add_f64_e32 v[86:87], v[82:83], v[78:79]
	;; [unrolled: 3-line block ×4, first 2 shown]
	v_add_f64_e64 v[140:141], v[16:17], -v[12:13]
	v_add_f64_e64 v[142:143], v[18:19], -v[14:15]
	s_mov_b32 s40, 0x4267c47c
	s_mov_b32 s28, 0x42a4c3d2
	;; [unrolled: 1-line block ×28, first 2 shown]
	v_add_f64_e32 v[44:45], v[44:45], v[16:17]
	v_add_f64_e32 v[46:47], v[46:47], v[18:19]
	s_wait_dscnt 0x0
	v_add_f64_e64 v[16:17], v[10:11], -v[6:7]
	v_add_f64_e32 v[18:19], v[8:9], v[4:5]
	v_add_f64_e32 v[10:11], v[10:11], v[6:7]
	v_add_f64_e64 v[8:9], v[8:9], -v[4:5]
	s_mov_b32 s37, 0x3fddbe06
	s_mov_b32 s36, s40
	;; [unrolled: 1-line block ×8, first 2 shown]
	v_add_f64_e32 v[168:169], v[74:75], v[106:107]
	v_add_f64_e32 v[174:175], v[96:97], v[100:101]
	;; [unrolled: 1-line block ×5, first 2 shown]
	v_add_f64_e64 v[24:25], v[24:25], -v[20:21]
	v_add_f64_e64 v[26:27], v[26:27], -v[22:23]
	v_mul_f64_e32 v[126:127], s[28:29], v[8:9]
	v_mul_f64_e32 v[128:129], s[30:31], v[8:9]
	;; [unrolled: 1-line block ×4, first 2 shown]
	v_add_f64_e32 v[44:45], v[44:45], v[32:33]
	v_add_f64_e32 v[46:47], v[46:47], v[34:35]
	s_wait_alu 0xfffe
	v_fma_f64 v[136:137], v[10:11], s[14:15], v[126:127]
	v_fma_f64 v[126:127], v[10:11], s[14:15], -v[126:127]
	v_fma_f64 v[138:139], v[10:11], s[2:3], v[128:129]
	v_fma_f64 v[128:129], v[10:11], s[2:3], -v[128:129]
	;; [unrolled: 2-line block ×4, first 2 shown]
	v_add_f64_e32 v[44:45], v[44:45], v[40:41]
	v_add_f64_e32 v[46:47], v[46:47], v[42:43]
	;; [unrolled: 1-line block ×11, first 2 shown]
	v_add_f64_e64 v[80:81], v[80:81], -v[76:77]
	v_add_f64_e64 v[82:83], v[82:83], -v[78:79]
	s_delay_alu instid0(VALU_DEP_4) | instskip(NEXT) | instid1(VALU_DEP_4)
	v_add_f64_e32 v[44:45], v[44:45], v[76:77]
	v_add_f64_e32 v[46:47], v[46:47], v[78:79]
	;; [unrolled: 1-line block ×4, first 2 shown]
	v_add_f64_e64 v[40:41], v[40:41], -v[36:37]
	v_add_f64_e64 v[42:43], v[42:43], -v[38:39]
	v_mul_f64_e32 v[132:133], s[26:27], v[82:83]
	v_add_f64_e32 v[44:45], v[44:45], v[36:37]
	v_add_f64_e32 v[46:47], v[46:47], v[38:39]
	;; [unrolled: 1-line block ×4, first 2 shown]
	v_add_f64_e64 v[32:33], v[32:33], -v[28:29]
	v_add_f64_e64 v[34:35], v[34:35], -v[30:31]
	v_add_f64_e32 v[28:29], v[44:45], v[28:29]
	v_add_f64_e32 v[30:31], v[46:47], v[30:31]
	s_delay_alu instid0(VALU_DEP_2) | instskip(NEXT) | instid1(VALU_DEP_2)
	v_add_f64_e32 v[20:21], v[28:29], v[20:21]
	v_add_f64_e32 v[22:23], v[30:31], v[22:23]
	v_mul_f64_e32 v[28:29], s[24:25], v[16:17]
	s_delay_alu instid0(VALU_DEP_3) | instskip(NEXT) | instid1(VALU_DEP_3)
	v_add_f64_e32 v[12:13], v[20:21], v[12:13]
	v_add_f64_e32 v[14:15], v[22:23], v[14:15]
	v_mul_f64_e32 v[20:21], s[30:31], v[16:17]
	v_mul_f64_e32 v[22:23], s[20:21], v[16:17]
	v_fma_f64 v[50:51], v[18:19], s[16:17], -v[28:29]
	v_fma_f64 v[28:29], v[18:19], s[16:17], v[28:29]
	v_add_f64_e32 v[4:5], v[12:13], v[4:5]
	v_add_f64_e32 v[6:7], v[14:15], v[6:7]
	v_mul_f64_e32 v[12:13], s[40:41], v[16:17]
	v_mul_f64_e32 v[14:15], s[28:29], v[16:17]
	;; [unrolled: 1-line block ×3, first 2 shown]
	v_fma_f64 v[46:47], v[18:19], s[2:3], -v[20:21]
	v_fma_f64 v[20:21], v[18:19], s[2:3], v[20:21]
	v_fma_f64 v[48:49], v[18:19], s[8:9], -v[22:23]
	v_fma_f64 v[22:23], v[18:19], s[8:9], v[22:23]
	v_add_f64_e32 v[150:151], v[0:1], v[50:51]
	v_add_f64_e32 v[138:139], v[0:1], v[28:29]
	v_mul_f64_e32 v[28:29], s[20:21], v[34:35]
	v_mul_f64_e32 v[50:51], s[24:25], v[42:43]
	v_fma_f64 v[30:31], v[18:19], s[18:19], -v[12:13]
	v_fma_f64 v[12:13], v[18:19], s[18:19], v[12:13]
	v_fma_f64 v[44:45], v[18:19], s[14:15], -v[14:15]
	v_fma_f64 v[14:15], v[18:19], s[14:15], v[14:15]
	;; [unrolled: 2-line block ×3, first 2 shown]
	v_mul_f64_e32 v[18:19], s[40:41], v[8:9]
	v_mul_f64_e32 v[8:9], s[26:27], v[8:9]
	v_add_f64_e32 v[159:160], v[0:1], v[46:47]
	v_add_f64_e32 v[46:47], v[2:3], v[144:145]
	;; [unrolled: 1-line block ×5, first 2 shown]
	v_mul_f64_e32 v[20:21], s[30:31], v[26:27]
	v_mul_f64_e32 v[22:23], s[30:31], v[24:25]
	v_add_f64_e32 v[44:45], v[0:1], v[44:45]
	v_add_f64_e32 v[157:158], v[0:1], v[14:15]
	v_add_f64_e32 v[146:147], v[0:1], v[124:125]
	v_mul_f64_e32 v[124:125], s[24:25], v[40:41]
	v_fma_f64 v[134:135], v[10:11], s[18:19], v[18:19]
	v_fma_f64 v[18:19], v[10:11], s[18:19], -v[18:19]
	v_fma_f64 v[153:154], v[10:11], s[22:23], v[8:9]
	v_fma_f64 v[8:9], v[10:11], s[22:23], -v[8:9]
	v_add_f64_e32 v[10:11], v[0:1], v[30:31]
	v_fma_f64 v[14:15], v[88:89], s[2:3], -v[20:21]
	v_add_f64_e32 v[30:31], v[2:3], v[134:135]
	v_add_f64_e32 v[18:19], v[2:3], v[18:19]
	;; [unrolled: 1-line block ×4, first 2 shown]
	v_mul_f64_e32 v[8:9], s[28:29], v[142:143]
	v_add_f64_e32 v[134:135], v[0:1], v[12:13]
	v_add_f64_e32 v[0:1], v[0:1], v[16:17]
	v_mul_f64_e32 v[16:17], s[28:29], v[140:141]
	s_delay_alu instid0(VALU_DEP_4) | instskip(SKIP_1) | instid1(VALU_DEP_2)
	v_fma_f64 v[12:13], v[92:93], s[14:15], -v[8:9]
	v_fma_f64 v[8:9], v[92:93], s[14:15], v[8:9]
	v_add_f64_e32 v[10:11], v[12:13], v[10:11]
	s_delay_alu instid0(VALU_DEP_4) | instskip(SKIP_1) | instid1(VALU_DEP_4)
	v_fma_f64 v[12:13], v[94:95], s[14:15], v[16:17]
	v_fma_f64 v[16:17], v[94:95], s[14:15], -v[16:17]
	v_add_f64_e32 v[8:9], v[8:9], v[134:135]
	v_mul_f64_e32 v[134:135], s[34:35], v[40:41]
	v_add_f64_e32 v[10:11], v[14:15], v[10:11]
	v_add_f64_e32 v[12:13], v[12:13], v[30:31]
	v_fma_f64 v[14:15], v[90:91], s[2:3], v[22:23]
	v_mul_f64_e32 v[30:31], s[20:21], v[32:33]
	v_add_f64_e32 v[16:17], v[16:17], v[18:19]
	v_fma_f64 v[18:19], v[88:89], s[2:3], v[20:21]
	s_delay_alu instid0(VALU_DEP_4) | instskip(SKIP_1) | instid1(VALU_DEP_3)
	v_add_f64_e32 v[12:13], v[14:15], v[12:13]
	v_fma_f64 v[14:15], v[36:37], s[8:9], -v[28:29]
	v_add_f64_e32 v[8:9], v[18:19], v[8:9]
	v_fma_f64 v[18:19], v[90:91], s[2:3], -v[22:23]
	s_delay_alu instid0(VALU_DEP_3) | instskip(SKIP_1) | instid1(VALU_DEP_3)
	v_add_f64_e32 v[10:11], v[14:15], v[10:11]
	v_fma_f64 v[14:15], v[38:39], s[8:9], v[30:31]
	v_add_f64_e32 v[16:17], v[18:19], v[16:17]
	v_fma_f64 v[18:19], v[36:37], s[8:9], v[28:29]
	v_mul_f64_e32 v[28:29], s[20:21], v[140:141]
	s_delay_alu instid0(VALU_DEP_4) | instskip(SKIP_1) | instid1(VALU_DEP_4)
	v_add_f64_e32 v[12:13], v[14:15], v[12:13]
	v_fma_f64 v[14:15], v[76:77], s[16:17], -v[50:51]
	v_add_f64_e32 v[8:9], v[18:19], v[8:9]
	v_fma_f64 v[18:19], v[38:39], s[8:9], -v[30:31]
	v_mul_f64_e32 v[30:31], s[26:27], v[26:27]
	v_fma_f64 v[20:21], v[94:95], s[8:9], v[28:29]
	v_fma_f64 v[28:29], v[94:95], s[8:9], -v[28:29]
	v_add_f64_e32 v[10:11], v[14:15], v[10:11]
	v_fma_f64 v[14:15], v[78:79], s[16:17], v[124:125]
	v_add_f64_e32 v[16:17], v[18:19], v[16:17]
	v_fma_f64 v[18:19], v[76:77], s[16:17], v[50:51]
	v_fma_f64 v[22:23], v[88:89], s[22:23], -v[30:31]
	v_add_f64_e32 v[20:21], v[20:21], v[155:156]
	v_mul_f64_e32 v[50:51], s[38:39], v[34:35]
	v_fma_f64 v[30:31], v[88:89], s[22:23], v[30:31]
	v_add_f64_e32 v[28:29], v[28:29], v[126:127]
	v_add_f64_e32 v[14:15], v[14:15], v[12:13]
	v_fma_f64 v[12:13], v[84:85], s[22:23], -v[132:133]
	v_add_f64_e32 v[8:9], v[18:19], v[8:9]
	v_fma_f64 v[18:19], v[78:79], s[16:17], -v[124:125]
	v_mul_f64_e32 v[124:125], s[38:39], v[32:33]
	s_delay_alu instid0(VALU_DEP_4) | instskip(SKIP_1) | instid1(VALU_DEP_4)
	v_add_f64_e32 v[12:13], v[12:13], v[10:11]
	v_mul_f64_e32 v[10:11], s[26:27], v[80:81]
	v_add_f64_e32 v[16:17], v[18:19], v[16:17]
	v_fma_f64 v[18:19], v[84:85], s[22:23], v[132:133]
	v_mul_f64_e32 v[132:133], s[34:35], v[42:43]
	s_delay_alu instid0(VALU_DEP_4) | instskip(SKIP_1) | instid1(VALU_DEP_4)
	v_fma_f64 v[153:154], v[86:87], s[22:23], v[10:11]
	v_fma_f64 v[10:11], v[86:87], s[22:23], -v[10:11]
	v_add_f64_e32 v[8:9], v[18:19], v[8:9]
	s_delay_alu instid0(VALU_DEP_3) | instskip(NEXT) | instid1(VALU_DEP_3)
	v_add_f64_e32 v[14:15], v[153:154], v[14:15]
	v_add_f64_e32 v[10:11], v[10:11], v[16:17]
	v_mul_f64_e32 v[16:17], s[20:21], v[142:143]
	v_mul_f64_e32 v[153:154], s[36:37], v[82:83]
	s_delay_alu instid0(VALU_DEP_2) | instskip(SKIP_1) | instid1(VALU_DEP_2)
	v_fma_f64 v[18:19], v[92:93], s[8:9], -v[16:17]
	v_fma_f64 v[16:17], v[92:93], s[8:9], v[16:17]
	v_add_f64_e32 v[18:19], v[18:19], v[44:45]
	v_mul_f64_e32 v[44:45], s[26:27], v[24:25]
	s_delay_alu instid0(VALU_DEP_3) | instskip(NEXT) | instid1(VALU_DEP_3)
	v_add_f64_e32 v[16:17], v[16:17], v[157:158]
	v_add_f64_e32 v[18:19], v[22:23], v[18:19]
	s_delay_alu instid0(VALU_DEP_3) | instskip(NEXT) | instid1(VALU_DEP_3)
	v_fma_f64 v[22:23], v[90:91], s[22:23], v[44:45]
	v_add_f64_e32 v[16:17], v[30:31], v[16:17]
	v_fma_f64 v[30:31], v[90:91], s[22:23], -v[44:45]
	v_mul_f64_e32 v[44:45], s[26:27], v[142:143]
	s_delay_alu instid0(VALU_DEP_4) | instskip(SKIP_1) | instid1(VALU_DEP_4)
	v_add_f64_e32 v[20:21], v[22:23], v[20:21]
	v_fma_f64 v[22:23], v[36:37], s[16:17], -v[50:51]
	v_add_f64_e32 v[28:29], v[30:31], v[28:29]
	v_fma_f64 v[30:31], v[36:37], s[16:17], v[50:51]
	v_mul_f64_e32 v[50:51], s[26:27], v[140:141]
	s_delay_alu instid0(VALU_DEP_4) | instskip(SKIP_1) | instid1(VALU_DEP_4)
	v_add_f64_e32 v[18:19], v[22:23], v[18:19]
	v_fma_f64 v[22:23], v[38:39], s[16:17], v[124:125]
	v_add_f64_e32 v[16:17], v[30:31], v[16:17]
	v_fma_f64 v[30:31], v[38:39], s[16:17], -v[124:125]
	v_mul_f64_e32 v[124:125], s[42:43], v[26:27]
	s_delay_alu instid0(VALU_DEP_4) | instskip(SKIP_1) | instid1(VALU_DEP_4)
	v_add_f64_e32 v[20:21], v[22:23], v[20:21]
	v_fma_f64 v[22:23], v[76:77], s[2:3], -v[132:133]
	v_add_f64_e32 v[28:29], v[30:31], v[28:29]
	v_fma_f64 v[30:31], v[76:77], s[2:3], v[132:133]
	v_fma_f64 v[126:127], v[88:89], s[8:9], -v[124:125]
	v_fma_f64 v[124:125], v[88:89], s[8:9], v[124:125]
	v_add_f64_e32 v[18:19], v[22:23], v[18:19]
	v_fma_f64 v[22:23], v[78:79], s[2:3], v[134:135]
	v_add_f64_e32 v[16:17], v[30:31], v[16:17]
	v_fma_f64 v[30:31], v[78:79], s[2:3], -v[134:135]
	s_delay_alu instid0(VALU_DEP_3) | instskip(SKIP_1) | instid1(VALU_DEP_3)
	v_add_f64_e32 v[22:23], v[22:23], v[20:21]
	v_fma_f64 v[20:21], v[84:85], s[18:19], -v[153:154]
	v_add_f64_e32 v[28:29], v[30:31], v[28:29]
	v_fma_f64 v[30:31], v[84:85], s[18:19], v[153:154]
	s_delay_alu instid0(VALU_DEP_3) | instskip(SKIP_1) | instid1(VALU_DEP_3)
	v_add_f64_e32 v[20:21], v[20:21], v[18:19]
	v_mul_f64_e32 v[18:19], s[36:37], v[80:81]
	v_add_f64_e32 v[16:17], v[30:31], v[16:17]
	v_fma_f64 v[30:31], v[94:95], s[22:23], v[50:51]
	v_fma_f64 v[50:51], v[94:95], s[22:23], -v[50:51]
	s_delay_alu instid0(VALU_DEP_4) | instskip(SKIP_1) | instid1(VALU_DEP_4)
	v_fma_f64 v[155:156], v[86:87], s[18:19], v[18:19]
	v_fma_f64 v[18:19], v[86:87], s[18:19], -v[18:19]
	v_add_f64_e32 v[30:31], v[30:31], v[161:162]
	s_delay_alu instid0(VALU_DEP_4)
	v_add_f64_e32 v[50:51], v[50:51], v[165:166]
	v_mul_f64_e32 v[165:166], s[44:45], v[82:83]
	v_add_f64_e32 v[22:23], v[155:156], v[22:23]
	v_add_f64_e32 v[18:19], v[18:19], v[28:29]
	v_fma_f64 v[28:29], v[92:93], s[22:23], -v[44:45]
	v_fma_f64 v[44:45], v[92:93], s[22:23], v[44:45]
	s_delay_alu instid0(VALU_DEP_2) | instskip(NEXT) | instid1(VALU_DEP_2)
	v_add_f64_e32 v[28:29], v[28:29], v[159:160]
	v_add_f64_e32 v[44:45], v[44:45], v[163:164]
	v_mul_f64_e32 v[163:164], s[46:47], v[40:41]
	s_delay_alu instid0(VALU_DEP_3) | instskip(SKIP_1) | instid1(VALU_DEP_4)
	v_add_f64_e32 v[28:29], v[126:127], v[28:29]
	v_mul_f64_e32 v[126:127], s[42:43], v[24:25]
	v_add_f64_e32 v[44:45], v[124:125], v[44:45]
	s_delay_alu instid0(VALU_DEP_2) | instskip(SKIP_1) | instid1(VALU_DEP_2)
	v_fma_f64 v[132:133], v[90:91], s[8:9], v[126:127]
	v_fma_f64 v[124:125], v[90:91], s[8:9], -v[126:127]
	v_add_f64_e32 v[30:31], v[132:133], v[30:31]
	v_mul_f64_e32 v[132:133], s[36:37], v[34:35]
	s_delay_alu instid0(VALU_DEP_3) | instskip(NEXT) | instid1(VALU_DEP_2)
	v_add_f64_e32 v[50:51], v[124:125], v[50:51]
	v_fma_f64 v[134:135], v[36:37], s[18:19], -v[132:133]
	v_fma_f64 v[124:125], v[36:37], s[18:19], v[132:133]
	s_delay_alu instid0(VALU_DEP_2) | instskip(SKIP_1) | instid1(VALU_DEP_3)
	v_add_f64_e32 v[28:29], v[134:135], v[28:29]
	v_mul_f64_e32 v[134:135], s[36:37], v[32:33]
	v_add_f64_e32 v[44:45], v[124:125], v[44:45]
	s_delay_alu instid0(VALU_DEP_2) | instskip(SKIP_1) | instid1(VALU_DEP_2)
	v_fma_f64 v[153:154], v[38:39], s[18:19], v[134:135]
	v_fma_f64 v[124:125], v[38:39], s[18:19], -v[134:135]
	v_add_f64_e32 v[30:31], v[153:154], v[30:31]
	v_mul_f64_e32 v[153:154], s[28:29], v[42:43]
	s_delay_alu instid0(VALU_DEP_3) | instskip(NEXT) | instid1(VALU_DEP_2)
	v_add_f64_e32 v[124:125], v[124:125], v[50:51]
	v_fma_f64 v[155:156], v[76:77], s[14:15], -v[153:154]
	v_fma_f64 v[50:51], v[76:77], s[14:15], v[153:154]
	v_mul_f64_e32 v[153:154], s[36:37], v[26:27]
	s_delay_alu instid0(VALU_DEP_3) | instskip(SKIP_1) | instid1(VALU_DEP_4)
	v_add_f64_e32 v[28:29], v[155:156], v[28:29]
	v_mul_f64_e32 v[155:156], s[28:29], v[40:41]
	v_add_f64_e32 v[50:51], v[50:51], v[44:45]
	s_delay_alu instid0(VALU_DEP_2) | instskip(SKIP_2) | instid1(VALU_DEP_3)
	v_fma_f64 v[157:158], v[78:79], s[14:15], v[155:156]
	v_fma_f64 v[44:45], v[78:79], s[14:15], -v[155:156]
	v_mul_f64_e32 v[155:156], s[36:37], v[24:25]
	v_add_f64_e32 v[30:31], v[157:158], v[30:31]
	v_mul_f64_e32 v[157:158], s[24:25], v[82:83]
	s_delay_alu instid0(VALU_DEP_4) | instskip(SKIP_1) | instid1(VALU_DEP_3)
	v_add_f64_e32 v[126:127], v[44:45], v[124:125]
	v_mul_f64_e32 v[44:45], s[38:39], v[142:143]
	v_fma_f64 v[159:160], v[84:85], s[16:17], -v[157:158]
	v_fma_f64 v[124:125], v[84:85], s[16:17], v[157:158]
	v_mul_f64_e32 v[157:158], s[30:31], v[34:35]
	s_delay_alu instid0(VALU_DEP_3) | instskip(SKIP_1) | instid1(VALU_DEP_4)
	v_add_f64_e32 v[28:29], v[159:160], v[28:29]
	v_mul_f64_e32 v[159:160], s[24:25], v[80:81]
	v_add_f64_e32 v[124:125], v[124:125], v[50:51]
	v_fma_f64 v[50:51], v[92:93], s[16:17], -v[44:45]
	v_fma_f64 v[44:45], v[92:93], s[16:17], v[44:45]
	s_delay_alu instid0(VALU_DEP_4) | instskip(SKIP_1) | instid1(VALU_DEP_4)
	v_fma_f64 v[132:133], v[86:87], s[16:17], -v[159:160]
	v_fma_f64 v[161:162], v[86:87], s[16:17], v[159:160]
	v_add_f64_e32 v[48:49], v[50:51], v[48:49]
	v_mul_f64_e32 v[50:51], s[38:39], v[140:141]
	v_mul_f64_e32 v[159:160], s[30:31], v[32:33]
	v_add_f64_e32 v[44:45], v[44:45], v[130:131]
	v_add_f64_e32 v[126:127], v[132:133], v[126:127]
	;; [unrolled: 1-line block ×3, first 2 shown]
	v_mul_f64_e32 v[161:162], s[46:47], v[42:43]
	v_fma_f64 v[132:133], v[94:95], s[16:17], v[50:51]
	s_delay_alu instid0(VALU_DEP_1) | instskip(SKIP_1) | instid1(VALU_DEP_1)
	v_add_f64_e32 v[46:47], v[132:133], v[46:47]
	v_fma_f64 v[132:133], v[88:89], s[18:19], -v[153:154]
	v_add_f64_e32 v[48:49], v[132:133], v[48:49]
	v_fma_f64 v[132:133], v[90:91], s[18:19], v[155:156]
	s_delay_alu instid0(VALU_DEP_1) | instskip(SKIP_1) | instid1(VALU_DEP_1)
	v_add_f64_e32 v[46:47], v[132:133], v[46:47]
	v_fma_f64 v[132:133], v[36:37], s[2:3], -v[157:158]
	v_add_f64_e32 v[48:49], v[132:133], v[48:49]
	;; [unrolled: 5-line block ×4, first 2 shown]
	v_mul_f64_e32 v[48:49], s[44:45], v[80:81]
	s_delay_alu instid0(VALU_DEP_1) | instskip(SKIP_1) | instid1(VALU_DEP_2)
	v_fma_f64 v[134:135], v[86:87], s[14:15], v[48:49]
	v_fma_f64 v[48:49], v[86:87], s[14:15], -v[48:49]
	v_add_f64_e32 v[134:135], v[134:135], v[46:47]
	v_fma_f64 v[46:47], v[94:95], s[16:17], -v[50:51]
	v_fma_f64 v[50:51], v[88:89], s[18:19], v[153:154]
	s_delay_alu instid0(VALU_DEP_2) | instskip(NEXT) | instid1(VALU_DEP_2)
	v_add_f64_e32 v[46:47], v[46:47], v[128:129]
	v_add_f64_e32 v[44:45], v[50:51], v[44:45]
	v_fma_f64 v[50:51], v[90:91], s[18:19], -v[155:156]
	s_delay_alu instid0(VALU_DEP_1) | instskip(SKIP_1) | instid1(VALU_DEP_1)
	v_add_f64_e32 v[46:47], v[50:51], v[46:47]
	v_fma_f64 v[50:51], v[36:37], s[2:3], v[157:158]
	v_add_f64_e32 v[44:45], v[50:51], v[44:45]
	v_fma_f64 v[50:51], v[38:39], s[2:3], -v[159:160]
	s_delay_alu instid0(VALU_DEP_1) | instskip(SKIP_1) | instid1(VALU_DEP_1)
	v_add_f64_e32 v[46:47], v[50:51], v[46:47]
	v_fma_f64 v[50:51], v[76:77], s[22:23], v[161:162]
	v_add_f64_e32 v[44:45], v[50:51], v[44:45]
	v_fma_f64 v[50:51], v[78:79], s[22:23], -v[163:164]
	s_delay_alu instid0(VALU_DEP_1) | instskip(SKIP_1) | instid1(VALU_DEP_2)
	v_add_f64_e32 v[46:47], v[50:51], v[46:47]
	v_fma_f64 v[50:51], v[84:85], s[14:15], v[165:166]
	v_add_f64_e32 v[130:131], v[48:49], v[46:47]
	s_delay_alu instid0(VALU_DEP_2) | instskip(SKIP_4) | instid1(VALU_DEP_4)
	v_add_f64_e32 v[128:129], v[50:51], v[44:45]
	v_mul_f64_e32 v[50:51], s[34:35], v[140:141]
	v_mul_f64_e32 v[48:49], s[34:35], v[142:143]
	;; [unrolled: 1-line block ×4, first 2 shown]
	v_fma_f64 v[46:47], v[94:95], s[2:3], v[50:51]
	s_delay_alu instid0(VALU_DEP_4) | instskip(SKIP_2) | instid1(VALU_DEP_4)
	v_fma_f64 v[44:45], v[92:93], s[2:3], -v[48:49]
	v_fma_f64 v[48:49], v[92:93], s[2:3], v[48:49]
	v_fma_f64 v[50:51], v[94:95], s[2:3], -v[50:51]
	v_add_f64_e32 v[46:47], v[46:47], v[148:149]
	v_mul_f64_e32 v[148:149], s[28:29], v[26:27]
	v_add_f64_e32 v[44:45], v[44:45], v[150:151]
	v_add_f64_e32 v[48:49], v[48:49], v[138:139]
	;; [unrolled: 1-line block ×3, first 2 shown]
	v_mul_f64_e32 v[26:27], s[24:25], v[26:27]
	v_fma_f64 v[150:151], v[88:89], s[14:15], -v[148:149]
	v_fma_f64 v[136:137], v[88:89], s[14:15], v[148:149]
	v_add_f64_e32 v[148:149], v[66:67], v[114:115]
	s_delay_alu instid0(VALU_DEP_3) | instskip(SKIP_1) | instid1(VALU_DEP_4)
	v_add_f64_e32 v[44:45], v[150:151], v[44:45]
	v_mul_f64_e32 v[150:151], s[28:29], v[24:25]
	v_add_f64_e32 v[48:49], v[136:137], v[48:49]
	v_mul_f64_e32 v[24:25], s[24:25], v[24:25]
	s_delay_alu instid0(VALU_DEP_3) | instskip(SKIP_2) | instid1(VALU_DEP_3)
	v_fma_f64 v[153:154], v[90:91], s[14:15], v[150:151]
	v_fma_f64 v[136:137], v[90:91], s[14:15], -v[150:151]
	v_add_f64_e64 v[150:151], v[70:71], -v[110:111]
	v_add_f64_e32 v[46:47], v[153:154], v[46:47]
	v_mul_f64_e32 v[153:154], s[46:47], v[34:35]
	s_delay_alu instid0(VALU_DEP_4) | instskip(SKIP_1) | instid1(VALU_DEP_3)
	v_add_f64_e32 v[50:51], v[136:137], v[50:51]
	v_mul_f64_e32 v[34:35], s[44:45], v[34:35]
	v_fma_f64 v[155:156], v[36:37], s[22:23], -v[153:154]
	v_fma_f64 v[136:137], v[36:37], s[22:23], v[153:154]
	v_add_f64_e32 v[153:154], v[68:69], v[108:109]
	s_delay_alu instid0(VALU_DEP_3) | instskip(SKIP_1) | instid1(VALU_DEP_4)
	v_add_f64_e32 v[44:45], v[155:156], v[44:45]
	v_mul_f64_e32 v[155:156], s[46:47], v[32:33]
	v_add_f64_e32 v[48:49], v[136:137], v[48:49]
	v_mul_f64_e32 v[32:33], s[44:45], v[32:33]
	s_delay_alu instid0(VALU_DEP_3) | instskip(SKIP_2) | instid1(VALU_DEP_3)
	v_fma_f64 v[157:158], v[38:39], s[22:23], v[155:156]
	v_fma_f64 v[136:137], v[38:39], s[22:23], -v[155:156]
	v_add_f64_e64 v[155:156], v[68:69], -v[108:109]
	v_add_f64_e32 v[46:47], v[157:158], v[46:47]
	v_mul_f64_e32 v[157:158], s[36:37], v[42:43]
	s_delay_alu instid0(VALU_DEP_4) | instskip(SKIP_1) | instid1(VALU_DEP_3)
	v_add_f64_e32 v[50:51], v[136:137], v[50:51]
	v_mul_f64_e32 v[42:43], s[20:21], v[42:43]
	v_fma_f64 v[159:160], v[76:77], s[18:19], -v[157:158]
	v_fma_f64 v[136:137], v[76:77], s[18:19], v[157:158]
	v_add_f64_e32 v[157:158], v[70:71], v[110:111]
	s_delay_alu instid0(VALU_DEP_3) | instskip(SKIP_1) | instid1(VALU_DEP_4)
	v_add_f64_e32 v[44:45], v[159:160], v[44:45]
	v_mul_f64_e32 v[159:160], s[36:37], v[40:41]
	v_add_f64_e32 v[48:49], v[136:137], v[48:49]
	v_mul_f64_e32 v[40:41], s[20:21], v[40:41]
	s_delay_alu instid0(VALU_DEP_3) | instskip(SKIP_1) | instid1(VALU_DEP_2)
	v_fma_f64 v[161:162], v[78:79], s[18:19], v[159:160]
	v_fma_f64 v[136:137], v[78:79], s[18:19], -v[159:160]
	v_add_f64_e32 v[46:47], v[161:162], v[46:47]
	v_mul_f64_e32 v[161:162], s[20:21], v[82:83]
	s_delay_alu instid0(VALU_DEP_3) | instskip(SKIP_1) | instid1(VALU_DEP_3)
	v_add_f64_e32 v[50:51], v[136:137], v[50:51]
	v_mul_f64_e32 v[82:83], s[34:35], v[82:83]
	v_fma_f64 v[163:164], v[84:85], s[8:9], -v[161:162]
	v_fma_f64 v[136:137], v[84:85], s[8:9], v[161:162]
	s_delay_alu instid0(VALU_DEP_2) | instskip(SKIP_1) | instid1(VALU_DEP_3)
	v_add_f64_e32 v[44:45], v[163:164], v[44:45]
	v_mul_f64_e32 v[163:164], s[20:21], v[80:81]
	v_add_f64_e32 v[136:137], v[136:137], v[48:49]
	v_fma_f64 v[48:49], v[92:93], s[18:19], -v[142:143]
	v_fma_f64 v[92:93], v[92:93], s[18:19], v[142:143]
	v_mul_f64_e32 v[80:81], s[34:35], v[80:81]
	v_add_f64_e64 v[142:143], v[66:67], -v[114:115]
	v_fma_f64 v[138:139], v[86:87], s[8:9], -v[163:164]
	v_fma_f64 v[165:166], v[86:87], s[8:9], v[163:164]
	v_add_f64_e32 v[48:49], v[48:49], v[146:147]
	v_add_f64_e32 v[0:1], v[92:93], v[0:1]
	v_add_f64_e64 v[146:147], v[64:65], -v[112:113]
	v_add_f64_e32 v[138:139], v[138:139], v[50:51]
	v_fma_f64 v[50:51], v[94:95], s[18:19], v[140:141]
	v_fma_f64 v[94:95], v[94:95], s[18:19], -v[140:141]
	v_add_f64_e32 v[140:141], v[62:63], v[118:119]
	v_add_f64_e32 v[46:47], v[165:166], v[46:47]
	;; [unrolled: 1-line block ×4, first 2 shown]
	v_fma_f64 v[144:145], v[88:89], s[16:17], -v[26:27]
	v_fma_f64 v[26:27], v[88:89], s[16:17], v[26:27]
	v_add_f64_e32 v[2:3], v[94:95], v[2:3]
	v_add_f64_e64 v[93:94], v[60:61], -v[116:117]
	s_delay_alu instid0(VALU_DEP_4)
	v_add_f64_e32 v[48:49], v[144:145], v[48:49]
	v_fma_f64 v[144:145], v[90:91], s[16:17], v[24:25]
	v_fma_f64 v[24:25], v[90:91], s[16:17], -v[24:25]
	v_add_f64_e32 v[0:1], v[26:27], v[0:1]
	v_fma_f64 v[26:27], v[78:79], s[8:9], -v[40:41]
	v_add_f64_e64 v[89:90], v[56:57], -v[120:121]
	v_add_f64_e32 v[91:92], v[58:59], v[122:123]
	v_add_f64_e32 v[50:51], v[144:145], v[50:51]
	v_fma_f64 v[144:145], v[36:37], s[14:15], -v[34:35]
	v_fma_f64 v[34:35], v[36:37], s[14:15], v[34:35]
	v_add_f64_e32 v[2:3], v[24:25], v[2:3]
	v_fma_f64 v[24:25], v[76:77], s[8:9], v[42:43]
	s_delay_alu instid0(VALU_DEP_4) | instskip(SKIP_4) | instid1(VALU_DEP_4)
	v_add_f64_e32 v[48:49], v[144:145], v[48:49]
	v_fma_f64 v[144:145], v[38:39], s[14:15], v[32:33]
	v_fma_f64 v[32:33], v[38:39], s[14:15], -v[32:33]
	v_add_f64_e32 v[0:1], v[34:35], v[0:1]
	v_mul_f64_e32 v[34:35], s[28:29], v[93:94]
	v_add_f64_e32 v[50:51], v[144:145], v[50:51]
	v_fma_f64 v[144:145], v[76:77], s[8:9], -v[42:43]
	v_add_f64_e32 v[2:3], v[32:33], v[2:3]
	v_add_f64_e32 v[0:1], v[24:25], v[0:1]
	v_fma_f64 v[24:25], v[84:85], s[2:3], v[82:83]
	v_mul_f64_e32 v[32:33], s[40:41], v[89:90]
	v_fma_f64 v[36:37], v[140:141], s[14:15], v[34:35]
	v_add_f64_e32 v[48:49], v[144:145], v[48:49]
	v_fma_f64 v[144:145], v[78:79], s[8:9], v[40:41]
	v_add_f64_e32 v[2:3], v[26:27], v[2:3]
	v_fma_f64 v[26:27], v[86:87], s[2:3], -v[80:81]
	v_add_f64_e32 v[77:78], v[24:25], v[0:1]
	s_delay_alu instid0(VALU_DEP_4) | instskip(SKIP_2) | instid1(VALU_DEP_2)
	v_add_f64_e32 v[50:51], v[144:145], v[50:51]
	v_fma_f64 v[144:145], v[84:85], s[2:3], -v[82:83]
	v_add_f64_e32 v[83:84], v[56:57], v[120:121]
	v_add_f64_e32 v[48:49], v[144:145], v[48:49]
	v_fma_f64 v[144:145], v[86:87], s[2:3], v[80:81]
	v_add_f64_e64 v[81:82], v[58:59], -v[122:123]
	v_add_f64_e64 v[85:86], v[62:63], -v[118:119]
	v_add_f64_e32 v[79:80], v[26:27], v[2:3]
	v_add_f64_e32 v[87:88], v[60:61], v[116:117]
	;; [unrolled: 1-line block ×3, first 2 shown]
	v_mul_f64_e32 v[24:25], s[40:41], v[81:82]
	v_mul_f64_e32 v[26:27], s[28:29], v[85:86]
	v_add_f64_e32 v[144:145], v[64:65], v[112:113]
	s_delay_alu instid0(VALU_DEP_3) | instskip(NEXT) | instid1(VALU_DEP_3)
	v_fma_f64 v[0:1], v[83:84], s[18:19], -v[24:25]
	v_fma_f64 v[2:3], v[87:88], s[14:15], -v[26:27]
	v_fma_f64 v[24:25], v[83:84], s[18:19], v[24:25]
	v_fma_f64 v[26:27], v[87:88], s[14:15], v[26:27]
	s_delay_alu instid0(VALU_DEP_4) | instskip(NEXT) | instid1(VALU_DEP_3)
	v_add_f64_e32 v[0:1], v[52:53], v[0:1]
	v_add_f64_e32 v[24:25], v[52:53], v[24:25]
	s_delay_alu instid0(VALU_DEP_2) | instskip(SKIP_1) | instid1(VALU_DEP_3)
	v_add_f64_e32 v[0:1], v[2:3], v[0:1]
	v_fma_f64 v[2:3], v[91:92], s[18:19], v[32:33]
	v_add_f64_e32 v[24:25], v[26:27], v[24:25]
	v_fma_f64 v[26:27], v[91:92], s[18:19], -v[32:33]
	v_fma_f64 v[32:33], v[140:141], s[14:15], -v[34:35]
	s_delay_alu instid0(VALU_DEP_4) | instskip(NEXT) | instid1(VALU_DEP_3)
	v_add_f64_e32 v[2:3], v[54:55], v[2:3]
	v_add_f64_e32 v[26:27], v[54:55], v[26:27]
	s_delay_alu instid0(VALU_DEP_2) | instskip(SKIP_1) | instid1(VALU_DEP_3)
	v_add_f64_e32 v[2:3], v[36:37], v[2:3]
	v_mul_f64_e32 v[36:37], s[30:31], v[142:143]
	v_add_f64_e32 v[26:27], v[32:33], v[26:27]
	s_delay_alu instid0(VALU_DEP_2) | instskip(SKIP_2) | instid1(VALU_DEP_3)
	v_fma_f64 v[38:39], v[144:145], s[2:3], -v[36:37]
	v_fma_f64 v[32:33], v[144:145], s[2:3], v[36:37]
	v_mul_f64_e32 v[36:37], s[28:29], v[89:90]
	v_add_f64_e32 v[0:1], v[38:39], v[0:1]
	v_mul_f64_e32 v[38:39], s[30:31], v[146:147]
	s_delay_alu instid0(VALU_DEP_4) | instskip(NEXT) | instid1(VALU_DEP_2)
	v_add_f64_e32 v[24:25], v[32:33], v[24:25]
	v_fma_f64 v[40:41], v[148:149], s[2:3], v[38:39]
	v_fma_f64 v[32:33], v[148:149], s[2:3], -v[38:39]
	v_mul_f64_e32 v[38:39], s[20:21], v[93:94]
	s_delay_alu instid0(VALU_DEP_3) | instskip(SKIP_1) | instid1(VALU_DEP_4)
	v_add_f64_e32 v[2:3], v[40:41], v[2:3]
	v_mul_f64_e32 v[40:41], s[20:21], v[150:151]
	v_add_f64_e32 v[26:27], v[32:33], v[26:27]
	s_delay_alu instid0(VALU_DEP_2) | instskip(SKIP_2) | instid1(VALU_DEP_3)
	v_fma_f64 v[42:43], v[153:154], s[8:9], -v[40:41]
	v_fma_f64 v[32:33], v[153:154], s[8:9], v[40:41]
	v_fma_f64 v[40:41], v[140:141], s[8:9], v[38:39]
	v_add_f64_e32 v[0:1], v[42:43], v[0:1]
	v_mul_f64_e32 v[42:43], s[20:21], v[155:156]
	s_delay_alu instid0(VALU_DEP_4) | instskip(NEXT) | instid1(VALU_DEP_2)
	v_add_f64_e32 v[24:25], v[32:33], v[24:25]
	v_fma_f64 v[159:160], v[157:158], s[8:9], v[42:43]
	v_fma_f64 v[32:33], v[157:158], s[8:9], -v[42:43]
	s_delay_alu instid0(VALU_DEP_2) | instskip(SKIP_1) | instid1(VALU_DEP_3)
	v_add_f64_e32 v[2:3], v[159:160], v[2:3]
	v_add_f64_e64 v[159:160], v[74:75], -v[106:107]
	v_add_f64_e32 v[26:27], v[32:33], v[26:27]
	s_delay_alu instid0(VALU_DEP_2) | instskip(NEXT) | instid1(VALU_DEP_1)
	v_mul_f64_e32 v[161:162], s[24:25], v[159:160]
	v_fma_f64 v[166:167], v[164:165], s[16:17], -v[161:162]
	v_fma_f64 v[32:33], v[164:165], s[16:17], v[161:162]
	s_delay_alu instid0(VALU_DEP_2) | instskip(SKIP_1) | instid1(VALU_DEP_3)
	v_add_f64_e32 v[0:1], v[166:167], v[0:1]
	v_add_f64_e64 v[166:167], v[72:73], -v[104:105]
	v_add_f64_e32 v[24:25], v[32:33], v[24:25]
	s_delay_alu instid0(VALU_DEP_2) | instskip(NEXT) | instid1(VALU_DEP_1)
	v_mul_f64_e32 v[170:171], s[24:25], v[166:167]
	v_fma_f64 v[172:173], v[168:169], s[16:17], v[170:171]
	v_fma_f64 v[32:33], v[168:169], s[16:17], -v[170:171]
	s_delay_alu instid0(VALU_DEP_2) | instskip(SKIP_1) | instid1(VALU_DEP_3)
	v_add_f64_e32 v[2:3], v[172:173], v[2:3]
	v_add_f64_e64 v[172:173], v[98:99], -v[102:103]
	v_add_f64_e32 v[26:27], v[32:33], v[26:27]
	s_delay_alu instid0(VALU_DEP_2) | instskip(NEXT) | instid1(VALU_DEP_1)
	v_mul_f64_e32 v[176:177], s[26:27], v[172:173]
	v_fma_f64 v[178:179], v[174:175], s[22:23], -v[176:177]
	v_fma_f64 v[32:33], v[174:175], s[22:23], v[176:177]
	s_delay_alu instid0(VALU_DEP_2) | instskip(SKIP_1) | instid1(VALU_DEP_3)
	v_add_f64_e32 v[0:1], v[178:179], v[0:1]
	v_add_f64_e64 v[178:179], v[96:97], -v[100:101]
	v_add_f64_e32 v[228:229], v[32:33], v[24:25]
	v_mul_f64_e32 v[32:33], s[28:29], v[81:82]
	s_delay_alu instid0(VALU_DEP_3) | instskip(NEXT) | instid1(VALU_DEP_2)
	v_mul_f64_e32 v[183:184], s[26:27], v[178:179]
	v_fma_f64 v[24:25], v[83:84], s[14:15], -v[32:33]
	v_fma_f64 v[32:33], v[83:84], s[14:15], v[32:33]
	s_delay_alu instid0(VALU_DEP_3) | instskip(SKIP_1) | instid1(VALU_DEP_4)
	v_fma_f64 v[34:35], v[181:182], s[22:23], -v[183:184]
	v_fma_f64 v[185:186], v[181:182], s[22:23], v[183:184]
	v_add_f64_e32 v[24:25], v[52:53], v[24:25]
	s_delay_alu instid0(VALU_DEP_4) | instskip(NEXT) | instid1(VALU_DEP_4)
	v_add_f64_e32 v[32:33], v[52:53], v[32:33]
	v_add_f64_e32 v[230:231], v[34:35], v[26:27]
	v_mul_f64_e32 v[34:35], s[20:21], v[85:86]
	v_add_f64_e32 v[2:3], v[185:186], v[2:3]
	s_delay_alu instid0(VALU_DEP_2) | instskip(SKIP_1) | instid1(VALU_DEP_2)
	v_fma_f64 v[26:27], v[87:88], s[8:9], -v[34:35]
	v_fma_f64 v[34:35], v[87:88], s[8:9], v[34:35]
	v_add_f64_e32 v[24:25], v[26:27], v[24:25]
	v_fma_f64 v[26:27], v[91:92], s[14:15], v[36:37]
	s_delay_alu instid0(VALU_DEP_3) | instskip(SKIP_2) | instid1(VALU_DEP_4)
	v_add_f64_e32 v[32:33], v[34:35], v[32:33]
	v_fma_f64 v[34:35], v[91:92], s[14:15], -v[36:37]
	v_fma_f64 v[36:37], v[140:141], s[8:9], -v[38:39]
	v_add_f64_e32 v[26:27], v[54:55], v[26:27]
	s_delay_alu instid0(VALU_DEP_3) | instskip(NEXT) | instid1(VALU_DEP_2)
	v_add_f64_e32 v[34:35], v[54:55], v[34:35]
	v_add_f64_e32 v[26:27], v[40:41], v[26:27]
	v_mul_f64_e32 v[40:41], s[26:27], v[142:143]
	s_delay_alu instid0(VALU_DEP_3) | instskip(NEXT) | instid1(VALU_DEP_2)
	v_add_f64_e32 v[34:35], v[36:37], v[34:35]
	v_fma_f64 v[42:43], v[144:145], s[22:23], -v[40:41]
	v_fma_f64 v[36:37], v[144:145], s[22:23], v[40:41]
	v_mul_f64_e32 v[40:41], s[30:31], v[89:90]
	s_delay_alu instid0(VALU_DEP_3) | instskip(SKIP_1) | instid1(VALU_DEP_4)
	v_add_f64_e32 v[24:25], v[42:43], v[24:25]
	v_mul_f64_e32 v[42:43], s[26:27], v[146:147]
	v_add_f64_e32 v[32:33], v[36:37], v[32:33]
	s_delay_alu instid0(VALU_DEP_2) | instskip(SKIP_2) | instid1(VALU_DEP_3)
	v_fma_f64 v[161:162], v[148:149], s[22:23], v[42:43]
	v_fma_f64 v[36:37], v[148:149], s[22:23], -v[42:43]
	v_mul_f64_e32 v[42:43], s[26:27], v[93:94]
	v_add_f64_e32 v[26:27], v[161:162], v[26:27]
	v_mul_f64_e32 v[161:162], s[38:39], v[150:151]
	s_delay_alu instid0(VALU_DEP_4) | instskip(NEXT) | instid1(VALU_DEP_2)
	v_add_f64_e32 v[34:35], v[36:37], v[34:35]
	v_fma_f64 v[170:171], v[153:154], s[16:17], -v[161:162]
	v_fma_f64 v[36:37], v[153:154], s[16:17], v[161:162]
	v_fma_f64 v[161:162], v[140:141], s[22:23], v[42:43]
	s_delay_alu instid0(VALU_DEP_3) | instskip(SKIP_1) | instid1(VALU_DEP_4)
	v_add_f64_e32 v[24:25], v[170:171], v[24:25]
	v_mul_f64_e32 v[170:171], s[38:39], v[155:156]
	v_add_f64_e32 v[32:33], v[36:37], v[32:33]
	s_delay_alu instid0(VALU_DEP_2) | instskip(SKIP_1) | instid1(VALU_DEP_2)
	v_fma_f64 v[176:177], v[157:158], s[16:17], v[170:171]
	v_fma_f64 v[36:37], v[157:158], s[16:17], -v[170:171]
	v_add_f64_e32 v[26:27], v[176:177], v[26:27]
	v_mul_f64_e32 v[176:177], s[34:35], v[159:160]
	s_delay_alu instid0(VALU_DEP_3) | instskip(NEXT) | instid1(VALU_DEP_2)
	v_add_f64_e32 v[34:35], v[36:37], v[34:35]
	v_fma_f64 v[183:184], v[164:165], s[2:3], -v[176:177]
	v_fma_f64 v[36:37], v[164:165], s[2:3], v[176:177]
	s_delay_alu instid0(VALU_DEP_2) | instskip(SKIP_1) | instid1(VALU_DEP_3)
	v_add_f64_e32 v[24:25], v[183:184], v[24:25]
	v_mul_f64_e32 v[183:184], s[34:35], v[166:167]
	v_add_f64_e32 v[32:33], v[36:37], v[32:33]
	s_delay_alu instid0(VALU_DEP_2) | instskip(SKIP_1) | instid1(VALU_DEP_2)
	v_fma_f64 v[185:186], v[168:169], s[2:3], v[183:184]
	v_fma_f64 v[36:37], v[168:169], s[2:3], -v[183:184]
	v_add_f64_e32 v[26:27], v[185:186], v[26:27]
	v_mul_f64_e32 v[185:186], s[36:37], v[172:173]
	s_delay_alu instid0(VALU_DEP_3) | instskip(NEXT) | instid1(VALU_DEP_2)
	v_add_f64_e32 v[34:35], v[36:37], v[34:35]
	v_fma_f64 v[187:188], v[174:175], s[18:19], -v[185:186]
	v_fma_f64 v[36:37], v[174:175], s[18:19], v[185:186]
	s_delay_alu instid0(VALU_DEP_2) | instskip(SKIP_1) | instid1(VALU_DEP_3)
	v_add_f64_e32 v[24:25], v[187:188], v[24:25]
	v_mul_f64_e32 v[187:188], s[36:37], v[178:179]
	v_add_f64_e32 v[220:221], v[36:37], v[32:33]
	v_mul_f64_e32 v[36:37], s[30:31], v[81:82]
	s_delay_alu instid0(VALU_DEP_3) | instskip(SKIP_1) | instid1(VALU_DEP_3)
	v_fma_f64 v[38:39], v[181:182], s[18:19], -v[187:188]
	v_fma_f64 v[189:190], v[181:182], s[18:19], v[187:188]
	v_fma_f64 v[32:33], v[83:84], s[2:3], -v[36:37]
	v_fma_f64 v[36:37], v[83:84], s[2:3], v[36:37]
	s_delay_alu instid0(VALU_DEP_4) | instskip(SKIP_1) | instid1(VALU_DEP_4)
	v_add_f64_e32 v[222:223], v[38:39], v[34:35]
	v_mul_f64_e32 v[38:39], s[26:27], v[85:86]
	v_add_f64_e32 v[32:33], v[52:53], v[32:33]
	s_delay_alu instid0(VALU_DEP_4) | instskip(SKIP_1) | instid1(VALU_DEP_4)
	v_add_f64_e32 v[36:37], v[52:53], v[36:37]
	v_add_f64_e32 v[26:27], v[189:190], v[26:27]
	v_fma_f64 v[34:35], v[87:88], s[22:23], -v[38:39]
	v_fma_f64 v[38:39], v[87:88], s[22:23], v[38:39]
	s_delay_alu instid0(VALU_DEP_2) | instskip(SKIP_1) | instid1(VALU_DEP_3)
	v_add_f64_e32 v[32:33], v[34:35], v[32:33]
	v_fma_f64 v[34:35], v[91:92], s[2:3], v[40:41]
	v_add_f64_e32 v[36:37], v[38:39], v[36:37]
	v_fma_f64 v[38:39], v[91:92], s[2:3], -v[40:41]
	v_fma_f64 v[40:41], v[140:141], s[22:23], -v[42:43]
	s_delay_alu instid0(VALU_DEP_4) | instskip(NEXT) | instid1(VALU_DEP_3)
	v_add_f64_e32 v[34:35], v[54:55], v[34:35]
	v_add_f64_e32 v[38:39], v[54:55], v[38:39]
	s_delay_alu instid0(VALU_DEP_2) | instskip(SKIP_1) | instid1(VALU_DEP_3)
	v_add_f64_e32 v[34:35], v[161:162], v[34:35]
	v_mul_f64_e32 v[161:162], s[42:43], v[142:143]
	v_add_f64_e32 v[38:39], v[40:41], v[38:39]
	s_delay_alu instid0(VALU_DEP_2) | instskip(SKIP_2) | instid1(VALU_DEP_3)
	v_fma_f64 v[170:171], v[144:145], s[8:9], -v[161:162]
	v_fma_f64 v[40:41], v[144:145], s[8:9], v[161:162]
	v_mul_f64_e32 v[161:162], s[20:21], v[89:90]
	v_add_f64_e32 v[32:33], v[170:171], v[32:33]
	v_mul_f64_e32 v[170:171], s[42:43], v[146:147]
	s_delay_alu instid0(VALU_DEP_4) | instskip(NEXT) | instid1(VALU_DEP_2)
	v_add_f64_e32 v[36:37], v[40:41], v[36:37]
	v_fma_f64 v[176:177], v[148:149], s[8:9], v[170:171]
	v_fma_f64 v[40:41], v[148:149], s[8:9], -v[170:171]
	v_mul_f64_e32 v[170:171], s[38:39], v[93:94]
	s_delay_alu instid0(VALU_DEP_3) | instskip(SKIP_1) | instid1(VALU_DEP_4)
	v_add_f64_e32 v[34:35], v[176:177], v[34:35]
	v_mul_f64_e32 v[176:177], s[36:37], v[150:151]
	v_add_f64_e32 v[38:39], v[40:41], v[38:39]
	s_delay_alu instid0(VALU_DEP_2) | instskip(SKIP_2) | instid1(VALU_DEP_3)
	v_fma_f64 v[183:184], v[153:154], s[18:19], -v[176:177]
	v_fma_f64 v[40:41], v[153:154], s[18:19], v[176:177]
	v_fma_f64 v[176:177], v[140:141], s[16:17], v[170:171]
	v_add_f64_e32 v[32:33], v[183:184], v[32:33]
	v_mul_f64_e32 v[183:184], s[36:37], v[155:156]
	s_delay_alu instid0(VALU_DEP_4) | instskip(NEXT) | instid1(VALU_DEP_2)
	v_add_f64_e32 v[36:37], v[40:41], v[36:37]
	v_fma_f64 v[185:186], v[157:158], s[18:19], v[183:184]
	v_fma_f64 v[40:41], v[157:158], s[18:19], -v[183:184]
	s_delay_alu instid0(VALU_DEP_2) | instskip(SKIP_1) | instid1(VALU_DEP_3)
	v_add_f64_e32 v[34:35], v[185:186], v[34:35]
	v_mul_f64_e32 v[185:186], s[28:29], v[159:160]
	v_add_f64_e32 v[38:39], v[40:41], v[38:39]
	s_delay_alu instid0(VALU_DEP_2) | instskip(SKIP_1) | instid1(VALU_DEP_2)
	v_fma_f64 v[187:188], v[164:165], s[14:15], -v[185:186]
	v_fma_f64 v[40:41], v[164:165], s[14:15], v[185:186]
	v_add_f64_e32 v[32:33], v[187:188], v[32:33]
	v_mul_f64_e32 v[187:188], s[28:29], v[166:167]
	s_delay_alu instid0(VALU_DEP_3) | instskip(NEXT) | instid1(VALU_DEP_2)
	v_add_f64_e32 v[36:37], v[40:41], v[36:37]
	v_fma_f64 v[189:190], v[168:169], s[14:15], v[187:188]
	v_fma_f64 v[40:41], v[168:169], s[14:15], -v[187:188]
	s_delay_alu instid0(VALU_DEP_2) | instskip(SKIP_1) | instid1(VALU_DEP_3)
	v_add_f64_e32 v[34:35], v[189:190], v[34:35]
	v_mul_f64_e32 v[189:190], s[24:25], v[172:173]
	v_add_f64_e32 v[38:39], v[40:41], v[38:39]
	s_delay_alu instid0(VALU_DEP_2) | instskip(SKIP_1) | instid1(VALU_DEP_2)
	v_fma_f64 v[191:192], v[174:175], s[16:17], -v[189:190]
	v_fma_f64 v[40:41], v[174:175], s[16:17], v[189:190]
	v_add_f64_e32 v[32:33], v[191:192], v[32:33]
	v_mul_f64_e32 v[191:192], s[24:25], v[178:179]
	s_delay_alu instid0(VALU_DEP_3) | instskip(SKIP_1) | instid1(VALU_DEP_3)
	v_add_f64_e32 v[224:225], v[40:41], v[36:37]
	v_mul_f64_e32 v[40:41], s[20:21], v[81:82]
	v_fma_f64 v[42:43], v[181:182], s[16:17], -v[191:192]
	v_fma_f64 v[193:194], v[181:182], s[16:17], v[191:192]
	s_delay_alu instid0(VALU_DEP_3) | instskip(SKIP_1) | instid1(VALU_DEP_4)
	v_fma_f64 v[36:37], v[83:84], s[8:9], -v[40:41]
	v_fma_f64 v[40:41], v[83:84], s[8:9], v[40:41]
	v_add_f64_e32 v[226:227], v[42:43], v[38:39]
	v_mul_f64_e32 v[42:43], s[38:39], v[85:86]
	s_delay_alu instid0(VALU_DEP_4) | instskip(NEXT) | instid1(VALU_DEP_4)
	v_add_f64_e32 v[36:37], v[52:53], v[36:37]
	v_add_f64_e32 v[40:41], v[52:53], v[40:41]
	;; [unrolled: 1-line block ×3, first 2 shown]
	s_delay_alu instid0(VALU_DEP_4) | instskip(SKIP_1) | instid1(VALU_DEP_2)
	v_fma_f64 v[38:39], v[87:88], s[16:17], -v[42:43]
	v_fma_f64 v[42:43], v[87:88], s[16:17], v[42:43]
	v_add_f64_e32 v[36:37], v[38:39], v[36:37]
	v_fma_f64 v[38:39], v[91:92], s[8:9], v[161:162]
	s_delay_alu instid0(VALU_DEP_3) | instskip(SKIP_2) | instid1(VALU_DEP_4)
	v_add_f64_e32 v[40:41], v[42:43], v[40:41]
	v_fma_f64 v[42:43], v[91:92], s[8:9], -v[161:162]
	v_fma_f64 v[161:162], v[140:141], s[16:17], -v[170:171]
	v_add_f64_e32 v[38:39], v[54:55], v[38:39]
	s_delay_alu instid0(VALU_DEP_3) | instskip(NEXT) | instid1(VALU_DEP_2)
	v_add_f64_e32 v[42:43], v[54:55], v[42:43]
	v_add_f64_e32 v[38:39], v[176:177], v[38:39]
	v_mul_f64_e32 v[176:177], s[36:37], v[142:143]
	s_delay_alu instid0(VALU_DEP_3) | instskip(NEXT) | instid1(VALU_DEP_2)
	v_add_f64_e32 v[42:43], v[161:162], v[42:43]
	v_fma_f64 v[183:184], v[144:145], s[18:19], -v[176:177]
	v_fma_f64 v[161:162], v[144:145], s[18:19], v[176:177]
	v_mul_f64_e32 v[176:177], s[24:25], v[89:90]
	v_mul_f64_e32 v[89:90], s[26:27], v[89:90]
	s_delay_alu instid0(VALU_DEP_4) | instskip(SKIP_2) | instid1(VALU_DEP_2)
	v_add_f64_e32 v[36:37], v[183:184], v[36:37]
	v_mul_f64_e32 v[183:184], s[36:37], v[146:147]
	v_add_f64_e32 v[40:41], v[161:162], v[40:41]
	v_fma_f64 v[185:186], v[148:149], s[18:19], v[183:184]
	v_fma_f64 v[161:162], v[148:149], s[18:19], -v[183:184]
	v_mul_f64_e32 v[183:184], s[34:35], v[93:94]
	v_mul_f64_e32 v[93:94], s[36:37], v[93:94]
	s_delay_alu instid0(VALU_DEP_4) | instskip(SKIP_2) | instid1(VALU_DEP_2)
	v_add_f64_e32 v[38:39], v[185:186], v[38:39]
	v_mul_f64_e32 v[185:186], s[30:31], v[150:151]
	v_add_f64_e32 v[42:43], v[161:162], v[42:43]
	v_fma_f64 v[187:188], v[153:154], s[2:3], -v[185:186]
	v_fma_f64 v[161:162], v[153:154], s[2:3], v[185:186]
	v_fma_f64 v[185:186], v[140:141], s[2:3], v[183:184]
	s_delay_alu instid0(VALU_DEP_3) | instskip(SKIP_1) | instid1(VALU_DEP_4)
	v_add_f64_e32 v[36:37], v[187:188], v[36:37]
	v_mul_f64_e32 v[187:188], s[30:31], v[155:156]
	v_add_f64_e32 v[40:41], v[161:162], v[40:41]
	s_delay_alu instid0(VALU_DEP_2) | instskip(SKIP_1) | instid1(VALU_DEP_2)
	v_fma_f64 v[189:190], v[157:158], s[2:3], v[187:188]
	v_fma_f64 v[161:162], v[157:158], s[2:3], -v[187:188]
	v_add_f64_e32 v[38:39], v[189:190], v[38:39]
	v_mul_f64_e32 v[189:190], s[46:47], v[159:160]
	s_delay_alu instid0(VALU_DEP_3) | instskip(NEXT) | instid1(VALU_DEP_2)
	v_add_f64_e32 v[42:43], v[161:162], v[42:43]
	v_fma_f64 v[191:192], v[164:165], s[22:23], -v[189:190]
	v_fma_f64 v[161:162], v[164:165], s[22:23], v[189:190]
	s_delay_alu instid0(VALU_DEP_2) | instskip(SKIP_1) | instid1(VALU_DEP_3)
	v_add_f64_e32 v[36:37], v[191:192], v[36:37]
	v_mul_f64_e32 v[191:192], s[46:47], v[166:167]
	v_add_f64_e32 v[40:41], v[161:162], v[40:41]
	s_delay_alu instid0(VALU_DEP_2) | instskip(SKIP_1) | instid1(VALU_DEP_2)
	v_fma_f64 v[193:194], v[168:169], s[22:23], v[191:192]
	v_fma_f64 v[161:162], v[168:169], s[22:23], -v[191:192]
	v_add_f64_e32 v[38:39], v[193:194], v[38:39]
	v_mul_f64_e32 v[193:194], s[44:45], v[172:173]
	s_delay_alu instid0(VALU_DEP_3) | instskip(NEXT) | instid1(VALU_DEP_2)
	v_add_f64_e32 v[42:43], v[161:162], v[42:43]
	v_fma_f64 v[195:196], v[174:175], s[14:15], -v[193:194]
	v_fma_f64 v[161:162], v[174:175], s[14:15], v[193:194]
	s_delay_alu instid0(VALU_DEP_2) | instskip(SKIP_1) | instid1(VALU_DEP_3)
	v_add_f64_e32 v[36:37], v[195:196], v[36:37]
	v_mul_f64_e32 v[195:196], s[44:45], v[178:179]
	v_add_f64_e32 v[216:217], v[161:162], v[40:41]
	v_mul_f64_e32 v[161:162], s[24:25], v[81:82]
	v_mul_f64_e32 v[81:82], s[26:27], v[81:82]
	s_delay_alu instid0(VALU_DEP_4) | instskip(SKIP_1) | instid1(VALU_DEP_4)
	v_fma_f64 v[170:171], v[181:182], s[14:15], -v[195:196]
	v_fma_f64 v[197:198], v[181:182], s[14:15], v[195:196]
	v_fma_f64 v[40:41], v[83:84], s[16:17], -v[161:162]
	v_fma_f64 v[161:162], v[83:84], s[16:17], v[161:162]
	s_delay_alu instid0(VALU_DEP_4) | instskip(SKIP_1) | instid1(VALU_DEP_4)
	v_add_f64_e32 v[218:219], v[170:171], v[42:43]
	v_mul_f64_e32 v[170:171], s[34:35], v[85:86]
	v_add_f64_e32 v[40:41], v[52:53], v[40:41]
	s_delay_alu instid0(VALU_DEP_4) | instskip(SKIP_4) | instid1(VALU_DEP_2)
	v_add_f64_e32 v[161:162], v[52:53], v[161:162]
	v_add_f64_e32 v[38:39], v[197:198], v[38:39]
	v_mul_f64_e32 v[85:86], s[36:37], v[85:86]
	v_fma_f64 v[42:43], v[87:88], s[2:3], -v[170:171]
	v_fma_f64 v[170:171], v[87:88], s[2:3], v[170:171]
	v_add_f64_e32 v[40:41], v[42:43], v[40:41]
	v_fma_f64 v[42:43], v[91:92], s[16:17], v[176:177]
	s_delay_alu instid0(VALU_DEP_3) | instskip(SKIP_2) | instid1(VALU_DEP_4)
	v_add_f64_e32 v[161:162], v[170:171], v[161:162]
	v_fma_f64 v[170:171], v[91:92], s[16:17], -v[176:177]
	v_fma_f64 v[176:177], v[140:141], s[2:3], -v[183:184]
	v_add_f64_e32 v[42:43], v[54:55], v[42:43]
	s_delay_alu instid0(VALU_DEP_3) | instskip(NEXT) | instid1(VALU_DEP_2)
	v_add_f64_e32 v[170:171], v[54:55], v[170:171]
	v_add_f64_e32 v[42:43], v[185:186], v[42:43]
	v_mul_f64_e32 v[185:186], s[28:29], v[142:143]
	s_delay_alu instid0(VALU_DEP_3) | instskip(SKIP_1) | instid1(VALU_DEP_3)
	v_add_f64_e32 v[170:171], v[176:177], v[170:171]
	v_mul_f64_e32 v[142:143], s[24:25], v[142:143]
	v_fma_f64 v[187:188], v[144:145], s[14:15], -v[185:186]
	v_fma_f64 v[176:177], v[144:145], s[14:15], v[185:186]
	s_delay_alu instid0(VALU_DEP_2) | instskip(SKIP_1) | instid1(VALU_DEP_3)
	v_add_f64_e32 v[40:41], v[187:188], v[40:41]
	v_mul_f64_e32 v[187:188], s[28:29], v[146:147]
	v_add_f64_e32 v[161:162], v[176:177], v[161:162]
	v_mul_f64_e32 v[146:147], s[24:25], v[146:147]
	s_delay_alu instid0(VALU_DEP_3) | instskip(SKIP_1) | instid1(VALU_DEP_2)
	v_fma_f64 v[189:190], v[148:149], s[14:15], v[187:188]
	v_fma_f64 v[176:177], v[148:149], s[14:15], -v[187:188]
	v_add_f64_e32 v[42:43], v[189:190], v[42:43]
	v_mul_f64_e32 v[189:190], s[46:47], v[150:151]
	s_delay_alu instid0(VALU_DEP_3) | instskip(SKIP_1) | instid1(VALU_DEP_3)
	v_add_f64_e32 v[170:171], v[176:177], v[170:171]
	v_mul_f64_e32 v[150:151], s[44:45], v[150:151]
	v_fma_f64 v[191:192], v[153:154], s[22:23], -v[189:190]
	v_fma_f64 v[176:177], v[153:154], s[22:23], v[189:190]
	s_delay_alu instid0(VALU_DEP_2) | instskip(SKIP_1) | instid1(VALU_DEP_3)
	v_add_f64_e32 v[40:41], v[191:192], v[40:41]
	v_mul_f64_e32 v[191:192], s[46:47], v[155:156]
	v_add_f64_e32 v[161:162], v[176:177], v[161:162]
	v_mul_f64_e32 v[155:156], s[44:45], v[155:156]
	s_delay_alu instid0(VALU_DEP_3) | instskip(SKIP_1) | instid1(VALU_DEP_2)
	v_fma_f64 v[193:194], v[157:158], s[22:23], v[191:192]
	v_fma_f64 v[176:177], v[157:158], s[22:23], -v[191:192]
	v_add_f64_e32 v[42:43], v[193:194], v[42:43]
	v_mul_f64_e32 v[193:194], s[36:37], v[159:160]
	s_delay_alu instid0(VALU_DEP_3) | instskip(NEXT) | instid1(VALU_DEP_2)
	v_add_f64_e32 v[170:171], v[176:177], v[170:171]
	v_fma_f64 v[195:196], v[164:165], s[18:19], -v[193:194]
	v_fma_f64 v[176:177], v[164:165], s[18:19], v[193:194]
	s_delay_alu instid0(VALU_DEP_2) | instskip(SKIP_1) | instid1(VALU_DEP_3)
	v_add_f64_e32 v[40:41], v[195:196], v[40:41]
	v_mul_f64_e32 v[195:196], s[36:37], v[166:167]
	v_add_f64_e32 v[161:162], v[176:177], v[161:162]
	v_mul_f64_e32 v[166:167], s[20:21], v[166:167]
	s_delay_alu instid0(VALU_DEP_3) | instskip(SKIP_1) | instid1(VALU_DEP_2)
	v_fma_f64 v[197:198], v[168:169], s[18:19], v[195:196]
	v_fma_f64 v[176:177], v[168:169], s[18:19], -v[195:196]
	v_add_f64_e32 v[42:43], v[197:198], v[42:43]
	v_mul_f64_e32 v[197:198], s[20:21], v[172:173]
	s_delay_alu instid0(VALU_DEP_3) | instskip(NEXT) | instid1(VALU_DEP_2)
	v_add_f64_e32 v[170:171], v[176:177], v[170:171]
	v_fma_f64 v[199:200], v[174:175], s[8:9], -v[197:198]
	v_fma_f64 v[176:177], v[174:175], s[8:9], v[197:198]
	s_delay_alu instid0(VALU_DEP_2) | instskip(SKIP_1) | instid1(VALU_DEP_3)
	v_add_f64_e32 v[40:41], v[199:200], v[40:41]
	v_mul_f64_e32 v[199:200], s[20:21], v[178:179]
	v_add_f64_e32 v[232:233], v[176:177], v[161:162]
	v_fma_f64 v[161:162], v[83:84], s[22:23], -v[81:82]
	v_fma_f64 v[176:177], v[140:141], s[18:19], v[93:94]
	v_fma_f64 v[81:82], v[83:84], s[22:23], v[81:82]
	v_fma_f64 v[83:84], v[91:92], s[22:23], -v[89:90]
	v_fma_f64 v[183:184], v[181:182], s[8:9], -v[199:200]
	v_fma_f64 v[201:202], v[181:182], s[8:9], v[199:200]
	v_add_f64_e32 v[161:162], v[52:53], v[161:162]
	v_add_f64_e32 v[81:82], v[52:53], v[81:82]
	;; [unrolled: 1-line block ×4, first 2 shown]
	v_fma_f64 v[170:171], v[87:88], s[18:19], -v[85:86]
	v_fma_f64 v[85:86], v[87:88], s[18:19], v[85:86]
	v_fma_f64 v[87:88], v[140:141], s[18:19], -v[93:94]
	v_add_f64_e32 v[42:43], v[201:202], v[42:43]
	s_delay_alu instid0(VALU_DEP_4) | instskip(SKIP_1) | instid1(VALU_DEP_4)
	v_add_f64_e32 v[161:162], v[170:171], v[161:162]
	v_fma_f64 v[170:171], v[91:92], s[22:23], v[89:90]
	v_add_f64_e32 v[83:84], v[87:88], v[83:84]
	v_fma_f64 v[87:88], v[148:149], s[16:17], -v[146:147]
	v_add_f64_e32 v[81:82], v[85:86], v[81:82]
	v_fma_f64 v[85:86], v[144:145], s[16:17], v[142:143]
	v_add_f64_e32 v[170:171], v[54:55], v[170:171]
	s_delay_alu instid0(VALU_DEP_4) | instskip(SKIP_1) | instid1(VALU_DEP_4)
	v_add_f64_e32 v[83:84], v[87:88], v[83:84]
	v_fma_f64 v[87:88], v[157:158], s[14:15], -v[155:156]
	v_add_f64_e32 v[81:82], v[85:86], v[81:82]
	v_fma_f64 v[85:86], v[153:154], s[14:15], v[150:151]
	v_add_f64_e32 v[170:171], v[176:177], v[170:171]
	v_fma_f64 v[176:177], v[144:145], s[16:17], -v[142:143]
	v_add_f64_e32 v[83:84], v[87:88], v[83:84]
	v_fma_f64 v[87:88], v[168:169], s[8:9], -v[166:167]
	v_add_f64_e32 v[81:82], v[85:86], v[81:82]
	s_delay_alu instid0(VALU_DEP_4) | instskip(SKIP_1) | instid1(VALU_DEP_4)
	v_add_f64_e32 v[161:162], v[176:177], v[161:162]
	v_fma_f64 v[176:177], v[148:149], s[16:17], v[146:147]
	v_add_f64_e32 v[83:84], v[87:88], v[83:84]
	s_delay_alu instid0(VALU_DEP_2) | instskip(SKIP_1) | instid1(VALU_DEP_1)
	v_add_f64_e32 v[170:171], v[176:177], v[170:171]
	v_fma_f64 v[176:177], v[153:154], s[14:15], -v[150:151]
	v_add_f64_e32 v[161:162], v[176:177], v[161:162]
	v_fma_f64 v[176:177], v[157:158], s[14:15], v[155:156]
	scratch_load_b32 v155, off, off offset:8 ; 4-byte Folded Reload
	global_wb scope:SCOPE_SE
	s_wait_loadcnt 0x0
	s_barrier_signal -1
	s_barrier_wait -1
	global_inv scope:SCOPE_SE
	v_add_f64_e32 v[170:171], v[176:177], v[170:171]
	v_mul_f64_e32 v[176:177], s[20:21], v[159:160]
	s_delay_alu instid0(VALU_DEP_1) | instskip(SKIP_1) | instid1(VALU_DEP_2)
	v_fma_f64 v[159:160], v[164:165], s[8:9], -v[176:177]
	v_fma_f64 v[85:86], v[164:165], s[8:9], v[176:177]
	v_add_f64_e32 v[159:160], v[159:160], v[161:162]
	v_fma_f64 v[161:162], v[168:169], s[8:9], v[166:167]
	s_delay_alu instid0(VALU_DEP_3) | instskip(NEXT) | instid1(VALU_DEP_2)
	v_add_f64_e32 v[81:82], v[85:86], v[81:82]
	v_add_f64_e32 v[162:163], v[161:162], v[170:171]
	v_mul_f64_e32 v[170:171], s[34:35], v[172:173]
	v_mul_f64_e32 v[172:173], s[34:35], v[178:179]
	s_delay_alu instid0(VALU_DEP_2) | instskip(SKIP_1) | instid1(VALU_DEP_3)
	v_fma_f64 v[178:179], v[174:175], s[2:3], -v[170:171]
	v_fma_f64 v[85:86], v[174:175], s[2:3], v[170:171]
	v_fma_f64 v[87:88], v[181:182], s[2:3], -v[172:173]
	s_delay_alu instid0(VALU_DEP_3) | instskip(SKIP_1) | instid1(VALU_DEP_4)
	v_add_f64_e32 v[160:161], v[178:179], v[159:160]
	v_fma_f64 v[178:179], v[181:182], s[2:3], v[172:173]
	v_add_f64_e32 v[164:165], v[85:86], v[81:82]
	s_delay_alu instid0(VALU_DEP_4) | instskip(SKIP_1) | instid1(VALU_DEP_3)
	v_add_f64_e32 v[166:167], v[87:88], v[83:84]
	s_load_b64 s[2:3], s[0:1], 0x8
	v_add_f64_e32 v[162:163], v[178:179], v[162:163]
	v_mul_lo_u16 v76, v155, 13
	s_delay_alu instid0(VALU_DEP_1) | instskip(NEXT) | instid1(VALU_DEP_1)
	v_and_b32_e32 v76, 0xffff, v76
	v_lshl_add_u32 v76, v76, 4, v203
	ds_store_b128 v76, v[4:7]
	ds_store_b128 v76, v[12:15] offset:16
	ds_store_b128 v76, v[20:23] offset:32
	;; [unrolled: 1-line block ×12, first 2 shown]
	v_add_co_u32 v77, s0, 0x5b, v155
	s_wait_alu 0xf1ff
	v_add_co_ci_u32_e64 v4, null, 0, 0, s0
	s_delay_alu instid0(VALU_DEP_2)
	v_mul_u32_u24_e32 v4, 13, v77
	scratch_store_b32 off, v4, off offset:760 ; 4-byte Folded Spill
	s_and_saveexec_b32 s0, vcc_lo
	s_cbranch_execz .LBB0_7
; %bb.6:
	v_add_f64_e32 v[4:5], v[54:55], v[58:59]
	v_add_f64_e32 v[6:7], v[52:53], v[56:57]
	s_delay_alu instid0(VALU_DEP_2) | instskip(NEXT) | instid1(VALU_DEP_2)
	v_add_f64_e32 v[4:5], v[4:5], v[62:63]
	v_add_f64_e32 v[6:7], v[6:7], v[60:61]
	s_delay_alu instid0(VALU_DEP_2) | instskip(NEXT) | instid1(VALU_DEP_2)
	;; [unrolled: 3-line block ×11, first 2 shown]
	v_add_f64_e32 v[6:7], v[4:5], v[122:123]
	v_add_f64_e32 v[4:5], v[8:9], v[120:121]
	v_mul_u32_u24_e32 v8, 13, v77
	s_delay_alu instid0(VALU_DEP_1)
	v_lshl_add_u32 v8, v8, 4, v203
	ds_store_b128 v8, v[24:27] offset:32
	ds_store_b128 v8, v[32:35] offset:48
	;; [unrolled: 1-line block ×10, first 2 shown]
	ds_store_b128 v8, v[4:7]
	ds_store_b128 v8, v[0:3] offset:16
	ds_store_b128 v8, v[228:231] offset:192
.LBB0_7:
	s_wait_alu 0xfffe
	s_or_b32 exec_lo, exec_lo, s0
	global_wb scope:SCOPE_SE
	s_wait_storecnt_dscnt 0x0
	s_wait_kmcnt 0x0
	s_barrier_signal -1
	s_barrier_wait -1
	global_inv scope:SCOPE_SE
	ds_load_b128 v[8:11], v180
	ds_load_b128 v[4:7], v180 offset:1456
	ds_load_b128 v[104:107], v180 offset:3120
	ds_load_b128 v[64:67], v180 offset:4576
	ds_load_b128 v[100:103], v180 offset:6240
	ds_load_b128 v[60:63], v180 offset:7696
	ds_load_b128 v[28:31], v180 offset:9360
	ds_load_b128 v[16:19], v180 offset:10816
	ds_load_b128 v[20:23], v180 offset:12480
	ds_load_b128 v[12:15], v180 offset:13936
	ds_load_b128 v[68:71], v180 offset:15600
	ds_load_b128 v[52:55], v180 offset:17056
	ds_load_b128 v[72:75], v180 offset:18720
	ds_load_b128 v[56:59], v180 offset:20176
	v_cmp_gt_u16_e64 s0, 13, v155
	s_delay_alu instid0(VALU_DEP_1)
	s_and_saveexec_b32 s1, s0
	s_cbranch_execz .LBB0_9
; %bb.8:
	ds_load_b128 v[0:3], v180 offset:2912
	ds_load_b128 v[24:27], v180 offset:6032
	;; [unrolled: 1-line block ×7, first 2 shown]
.LBB0_9:
	s_wait_alu 0xfffe
	s_or_b32 exec_lo, exec_lo, s1
	v_and_b32_e32 v44, 0xff, v155
	s_mov_b32 s22, 0xe976ee23
	s_mov_b32 s23, 0xbfe11646
	s_mov_b32 s18, 0xaaaaaaaa
	s_mov_b32 s8, 0x36b3c0b5
	v_mul_lo_u16 v44, 0x4f, v44
	s_mov_b32 s16, 0x429ad128
	s_mov_b32 s19, 0xbff2aaaa
	;; [unrolled: 1-line block ×4, first 2 shown]
	v_lshrrev_b16 v78, 10, v44
	s_mov_b32 s20, 0x5476071b
	s_mov_b32 s14, 0x37c3f68c
	;; [unrolled: 1-line block ×4, first 2 shown]
	v_mul_lo_u16 v44, v78, 13
	s_mov_b32 s15, 0x3fdc38aa
	s_mov_b32 s27, 0x3fe948f6
	;; [unrolled: 1-line block ×4, first 2 shown]
	v_sub_nc_u16 v44, v155, v44
	s_mov_b32 s25, 0x3fd5d0dc
	s_mov_b32 s31, 0xbfd5d0dc
	s_wait_alu 0xfffe
	s_mov_b32 s30, s24
	s_mov_b32 s28, s20
	v_and_b32_e32 v79, 0xff, v44
	s_delay_alu instid0(VALU_DEP_1) | instskip(NEXT) | instid1(VALU_DEP_1)
	v_mul_u32_u24_e32 v44, 6, v79
	v_lshlrev_b32_e32 v80, 4, v44
	s_clause 0x1
	global_load_b128 v[46:49], v80, s[2:3]
	global_load_b128 v[81:84], v80, s[2:3] offset:16
	s_wait_loadcnt_dscnt 0x10b
	v_mul_f64_e32 v[44:45], v[106:107], v[48:49]
	scratch_store_b128 off, v[46:49], off offset:232 ; 16-byte Folded Spill
	s_wait_loadcnt 0x0
	scratch_store_b128 off, v[81:84], off offset:248 ; 16-byte Folded Spill
	v_fma_f64 v[50:51], v[104:105], v[46:47], -v[44:45]
	v_mul_f64_e32 v[44:45], v[104:105], v[48:49]
	s_delay_alu instid0(VALU_DEP_1) | instskip(SKIP_2) | instid1(VALU_DEP_1)
	v_fma_f64 v[112:113], v[106:107], v[46:47], v[44:45]
	s_wait_dscnt 0x9
	v_mul_f64_e32 v[44:45], v[102:103], v[83:84]
	v_fma_f64 v[114:115], v[100:101], v[81:82], -v[44:45]
	v_mul_f64_e32 v[44:45], v[100:101], v[83:84]
	s_delay_alu instid0(VALU_DEP_1)
	v_fma_f64 v[168:169], v[102:103], v[81:82], v[44:45]
	s_clause 0x1
	global_load_b128 v[46:49], v80, s[2:3] offset:80
	global_load_b128 v[81:84], v80, s[2:3] offset:64
	s_wait_loadcnt_dscnt 0x101
	v_mul_f64_e32 v[44:45], v[74:75], v[48:49]
	scratch_store_b128 off, v[46:49], off offset:264 ; 16-byte Folded Spill
	s_wait_loadcnt 0x0
	scratch_store_b128 off, v[81:84], off offset:280 ; 16-byte Folded Spill
	v_fma_f64 v[170:171], v[72:73], v[46:47], -v[44:45]
	v_mul_f64_e32 v[44:45], v[72:73], v[48:49]
	s_delay_alu instid0(VALU_DEP_1) | instskip(SKIP_1) | instid1(VALU_DEP_2)
	v_fma_f64 v[172:173], v[74:75], v[46:47], v[44:45]
	v_mul_f64_e32 v[44:45], v[70:71], v[83:84]
	v_add_f64_e64 v[86:87], v[112:113], -v[172:173]
	s_delay_alu instid0(VALU_DEP_2) | instskip(SKIP_1) | instid1(VALU_DEP_1)
	v_fma_f64 v[174:175], v[68:69], v[81:82], -v[44:45]
	v_mul_f64_e32 v[44:45], v[68:69], v[83:84]
	v_fma_f64 v[176:177], v[70:71], v[81:82], v[44:45]
	v_and_b32_e32 v44, 0xff, v77
	s_delay_alu instid0(VALU_DEP_1) | instskip(NEXT) | instid1(VALU_DEP_1)
	v_mul_lo_u16 v44, 0x4f, v44
	v_lshrrev_b16 v68, 10, v44
	s_delay_alu instid0(VALU_DEP_1) | instskip(NEXT) | instid1(VALU_DEP_1)
	v_mul_lo_u16 v44, v68, 13
	v_sub_nc_u16 v44, v77, v44
	s_delay_alu instid0(VALU_DEP_1) | instskip(NEXT) | instid1(VALU_DEP_1)
	v_and_b32_e32 v69, 0xff, v44
	v_mul_u32_u24_e32 v44, 6, v69
	s_delay_alu instid0(VALU_DEP_1)
	v_lshlrev_b32_e32 v70, 4, v44
	s_clause 0x1
	global_load_b128 v[46:49], v70, s[2:3]
	global_load_b128 v[71:74], v70, s[2:3] offset:16
	s_wait_loadcnt 0x1
	v_mul_f64_e32 v[44:45], v[66:67], v[48:49]
	scratch_store_b128 off, v[46:49], off offset:296 ; 16-byte Folded Spill
	s_wait_loadcnt 0x0
	scratch_store_b128 off, v[71:74], off offset:312 ; 16-byte Folded Spill
	v_fma_f64 v[100:101], v[64:65], v[46:47], -v[44:45]
	v_mul_f64_e32 v[44:45], v[64:65], v[48:49]
	s_delay_alu instid0(VALU_DEP_1) | instskip(SKIP_1) | instid1(VALU_DEP_1)
	v_fma_f64 v[102:103], v[66:67], v[46:47], v[44:45]
	v_mul_f64_e32 v[44:45], v[62:63], v[73:74]
	v_fma_f64 v[104:105], v[60:61], v[71:72], -v[44:45]
	v_mul_f64_e32 v[44:45], v[60:61], v[73:74]
	v_add_f64_e32 v[74:75], v[112:113], v[172:173]
	s_delay_alu instid0(VALU_DEP_2)
	v_fma_f64 v[106:107], v[62:63], v[71:72], v[44:45]
	s_clause 0x1
	global_load_b128 v[46:49], v70, s[2:3] offset:80
	global_load_b128 v[60:63], v70, s[2:3] offset:64
	s_wait_loadcnt_dscnt 0x100
	v_mul_f64_e32 v[44:45], v[58:59], v[48:49]
	scratch_store_b128 off, v[46:49], off offset:328 ; 16-byte Folded Spill
	s_wait_loadcnt 0x0
	scratch_store_b128 off, v[60:63], off offset:344 ; 16-byte Folded Spill
	v_fma_f64 v[108:109], v[56:57], v[46:47], -v[44:45]
	v_mul_f64_e32 v[44:45], v[56:57], v[48:49]
	s_delay_alu instid0(VALU_DEP_2) | instskip(NEXT) | instid1(VALU_DEP_2)
	v_add_f64_e32 v[92:93], v[100:101], v[108:109]
	v_fma_f64 v[110:111], v[58:59], v[46:47], v[44:45]
	v_mul_f64_e32 v[44:45], v[54:55], v[62:63]
	s_delay_alu instid0(VALU_DEP_2) | instskip(NEXT) | instid1(VALU_DEP_2)
	v_add_f64_e32 v[116:117], v[102:103], v[110:111]
	v_fma_f64 v[46:47], v[52:53], v[60:61], -v[44:45]
	v_mul_f64_e32 v[44:45], v[52:53], v[62:63]
	s_delay_alu instid0(VALU_DEP_2) | instskip(NEXT) | instid1(VALU_DEP_2)
	v_add_f64_e32 v[94:95], v[104:105], v[46:47]
	v_fma_f64 v[48:49], v[54:55], v[60:61], v[44:45]
	s_clause 0x1
	global_load_b128 v[52:55], v80, s[2:3] offset:32
	global_load_b128 v[64:67], v80, s[2:3] offset:48
	v_add_f64_e32 v[84:85], v[94:95], v[92:93]
	v_add_f64_e32 v[118:119], v[106:107], v[48:49]
	s_wait_loadcnt 0x1
	v_mul_f64_e32 v[44:45], v[30:31], v[54:55]
	scratch_store_b128 off, v[52:55], off offset:360 ; 16-byte Folded Spill
	s_wait_loadcnt 0x0
	scratch_store_b128 off, v[64:67], off offset:392 ; 16-byte Folded Spill
	v_fma_f64 v[58:59], v[28:29], v[52:53], -v[44:45]
	v_mul_f64_e32 v[28:29], v[28:29], v[54:55]
	s_delay_alu instid0(VALU_DEP_1) | instskip(SKIP_1) | instid1(VALU_DEP_1)
	v_fma_f64 v[54:55], v[30:31], v[52:53], v[28:29]
	v_mul_f64_e32 v[28:29], v[22:23], v[66:67]
	v_fma_f64 v[62:63], v[20:21], v[64:65], -v[28:29]
	v_mul_f64_e32 v[20:21], v[20:21], v[66:67]
	s_delay_alu instid0(VALU_DEP_1)
	v_fma_f64 v[60:61], v[22:23], v[64:65], v[20:21]
	s_clause 0x1
	global_load_b128 v[64:67], v70, s[2:3] offset:32
	global_load_b128 v[70:73], v70, s[2:3] offset:48
	s_wait_loadcnt 0x1
	v_mul_f64_e32 v[20:21], v[18:19], v[66:67]
	scratch_store_b128 off, v[64:67], off offset:376 ; 16-byte Folded Spill
	s_wait_loadcnt 0x0
	scratch_store_b128 off, v[70:73], off offset:412 ; 16-byte Folded Spill
	v_fma_f64 v[30:31], v[16:17], v[64:65], -v[20:21]
	v_mul_f64_e32 v[16:17], v[16:17], v[66:67]
	s_delay_alu instid0(VALU_DEP_1) | instskip(SKIP_2) | instid1(VALU_DEP_1)
	v_fma_f64 v[28:29], v[18:19], v[64:65], v[16:17]
	v_mul_f64_e32 v[16:17], v[14:15], v[72:73]
	v_add_co_u32 v64, null, 0xb6, v155
	v_and_b32_e32 v65, 0xffff, v64
	s_delay_alu instid0(VALU_DEP_3) | instskip(SKIP_1) | instid1(VALU_DEP_2)
	v_fma_f64 v[56:57], v[12:13], v[70:71], -v[16:17]
	v_mul_f64_e32 v[12:13], v[12:13], v[72:73]
	v_add_f64_e32 v[96:97], v[30:31], v[56:57]
	s_delay_alu instid0(VALU_DEP_2) | instskip(SKIP_1) | instid1(VALU_DEP_1)
	v_fma_f64 v[52:53], v[14:15], v[70:71], v[12:13]
	v_mul_u32_u24_e32 v12, 0x4ec5, v65
	v_lshrrev_b32_e32 v12, 18, v12
	s_delay_alu instid0(VALU_DEP_1) | instskip(NEXT) | instid1(VALU_DEP_1)
	v_mul_lo_u16 v12, v12, 13
	v_sub_nc_u16 v66, v64, v12
	s_delay_alu instid0(VALU_DEP_1) | instskip(NEXT) | instid1(VALU_DEP_1)
	v_mul_lo_u16 v12, v66, 6
	v_and_b32_e32 v12, 0xffff, v12
	s_delay_alu instid0(VALU_DEP_1)
	v_lshlrev_b32_e32 v44, 4, v12
	s_clause 0x1
	global_load_b128 v[16:19], v44, s[2:3]
	global_load_b128 v[20:23], v44, s[2:3] offset:16
	v_add_f64_e32 v[98:99], v[96:97], v[84:85]
	v_add_f64_e32 v[120:121], v[28:29], v[52:53]
	;; [unrolled: 1-line block ×3, first 2 shown]
	v_add_f64_e64 v[52:53], v[52:53], -v[28:29]
	s_delay_alu instid0(VALU_DEP_4) | instskip(NEXT) | instid1(VALU_DEP_3)
	v_add_f64_e32 v[4:5], v[4:5], v[98:99]
	v_add_f64_e32 v[122:123], v[120:121], v[84:85]
	s_delay_alu instid0(VALU_DEP_2) | instskip(NEXT) | instid1(VALU_DEP_2)
	v_fma_f64 v[98:99], v[98:99], s[18:19], v[4:5]
	v_add_f64_e32 v[6:7], v[6:7], v[122:123]
	s_wait_loadcnt 0x1
	v_mul_f64_e32 v[12:13], v[26:27], v[18:19]
	scratch_store_b128 off, v[16:19], off offset:664 ; 16-byte Folded Spill
	s_wait_loadcnt 0x0
	scratch_store_b128 off, v[20:23], off offset:680 ; 16-byte Folded Spill
	v_fma_f64 v[14:15], v[24:25], v[16:17], -v[12:13]
	v_mul_f64_e32 v[12:13], v[24:25], v[18:19]
	s_delay_alu instid0(VALU_DEP_1) | instskip(SKIP_1) | instid1(VALU_DEP_1)
	v_fma_f64 v[12:13], v[26:27], v[16:17], v[12:13]
	v_mul_f64_e32 v[16:17], v[34:35], v[22:23]
	v_fma_f64 v[18:19], v[32:33], v[20:21], -v[16:17]
	v_mul_f64_e32 v[16:17], v[32:33], v[22:23]
	s_delay_alu instid0(VALU_DEP_1)
	v_fma_f64 v[16:17], v[34:35], v[20:21], v[16:17]
	s_clause 0x1
	global_load_b128 v[24:27], v44, s[2:3] offset:80
	global_load_b128 v[32:35], v44, s[2:3] offset:64
	s_wait_loadcnt 0x1
	scratch_store_b128 off, v[24:27], off offset:696 ; 16-byte Folded Spill
	s_wait_loadcnt 0x0
	scratch_store_b128 off, v[32:35], off offset:712 ; 16-byte Folded Spill
	s_clause 0x1
	global_load_b128 v[70:73], v44, s[2:3] offset:32
	global_load_b128 v[80:83], v44, s[2:3] offset:48
	v_mul_f64_e32 v[20:21], v[166:167], v[26:27]
	v_add_f64_e32 v[44:45], v[58:59], v[62:63]
	v_add_f64_e64 v[62:63], v[62:63], -v[58:59]
	v_add_f64_e64 v[58:59], v[168:169], -v[176:177]
	s_delay_alu instid0(VALU_DEP_4) | instskip(SKIP_1) | instid1(VALU_DEP_3)
	v_fma_f64 v[22:23], v[164:165], v[24:25], -v[20:21]
	v_mul_f64_e32 v[20:21], v[164:165], v[26:27]
	v_add_f64_e64 v[142:143], v[58:59], -v[86:87]
	s_delay_alu instid0(VALU_DEP_3) | instskip(NEXT) | instid1(VALU_DEP_3)
	v_add_f64_e32 v[124:125], v[14:15], v[22:23]
	v_fma_f64 v[20:21], v[166:167], v[24:25], v[20:21]
	v_mul_f64_e32 v[24:25], v[162:163], v[34:35]
	v_add_f64_e64 v[14:15], v[14:15], -v[22:23]
	s_delay_alu instid0(VALU_DEP_3) | instskip(NEXT) | instid1(VALU_DEP_3)
	v_add_f64_e32 v[132:133], v[12:13], v[20:21]
	v_fma_f64 v[26:27], v[160:161], v[32:33], -v[24:25]
	v_mul_f64_e32 v[24:25], v[160:161], v[34:35]
	v_add_f64_e64 v[12:13], v[12:13], -v[20:21]
	s_delay_alu instid0(VALU_DEP_3) | instskip(NEXT) | instid1(VALU_DEP_3)
	v_add_f64_e32 v[126:127], v[18:19], v[26:27]
	v_fma_f64 v[24:25], v[162:163], v[32:33], v[24:25]
	v_add_f64_e64 v[18:19], v[18:19], -v[26:27]
	s_delay_alu instid0(VALU_DEP_3) | instskip(NEXT) | instid1(VALU_DEP_3)
	v_add_f64_e32 v[84:85], v[126:127], v[124:125]
	v_add_f64_e32 v[134:135], v[16:17], v[24:25]
	v_add_f64_e64 v[16:17], v[16:17], -v[24:25]
	v_add_f64_e64 v[20:21], v[126:127], -v[124:125]
	s_wait_loadcnt 0x1
	v_mul_f64_e32 v[32:33], v[38:39], v[72:73]
	scratch_store_b128 off, v[70:73], off offset:728 ; 16-byte Folded Spill
	s_wait_loadcnt 0x0
	scratch_store_b128 off, v[80:83], off offset:744 ; 16-byte Folded Spill
	global_wb scope:SCOPE_SE
	s_wait_storecnt 0x0
	s_barrier_signal -1
	s_barrier_wait -1
	global_inv scope:SCOPE_SE
	v_fma_f64 v[34:35], v[36:37], v[70:71], -v[32:33]
	v_mul_f64_e32 v[32:33], v[36:37], v[72:73]
	v_mul_f64_e32 v[36:37], v[42:43], v[82:83]
	v_add_f64_e32 v[72:73], v[168:169], v[176:177]
	s_delay_alu instid0(VALU_DEP_3) | instskip(NEXT) | instid1(VALU_DEP_3)
	v_fma_f64 v[32:33], v[38:39], v[70:71], v[32:33]
	v_fma_f64 v[38:39], v[40:41], v[80:81], -v[36:37]
	v_mul_f64_e32 v[36:37], v[40:41], v[82:83]
	v_add_f64_e32 v[40:41], v[50:51], v[170:171]
	v_add_f64_e32 v[82:83], v[72:73], v[74:75]
	v_add_f64_e64 v[50:51], v[50:51], -v[170:171]
	v_add_f64_e32 v[128:129], v[34:35], v[38:39]
	v_fma_f64 v[36:37], v[42:43], v[80:81], v[36:37]
	v_add_f64_e32 v[42:43], v[114:115], v[174:175]
	v_add_f64_e32 v[80:81], v[54:55], v[60:61]
	v_add_f64_e64 v[54:55], v[60:61], -v[54:55]
	v_add_f64_e64 v[26:27], v[38:39], -v[34:35]
	v_add_f64_e32 v[130:131], v[128:129], v[84:85]
	v_add_f64_e32 v[136:137], v[32:33], v[36:37]
	;; [unrolled: 1-line block ×4, first 2 shown]
	v_add_f64_e64 v[88:89], v[42:43], -v[40:41]
	v_add_f64_e64 v[90:91], v[44:45], -v[42:43]
	;; [unrolled: 1-line block ×4, first 2 shown]
	v_add_f64_e32 v[82:83], v[80:81], v[82:83]
	v_add_f64_e32 v[140:141], v[54:55], v[58:59]
	v_add_f64_e64 v[40:41], v[40:41], -v[44:45]
	v_add_f64_e64 v[22:23], v[36:37], -v[32:33]
	;; [unrolled: 1-line block ×5, first 2 shown]
	v_add_f64_e32 v[36:37], v[26:27], v[18:19]
	v_add_f64_e64 v[18:19], v[18:19], -v[14:15]
	v_add_f64_e32 v[0:1], v[0:1], v[130:131]
	v_add_f64_e64 v[34:35], v[136:137], -v[134:135]
	;; [unrolled: 2-line block ×4, first 2 shown]
	v_mul_f64_e32 v[58:59], s[8:9], v[90:91]
	v_add_f64_e64 v[44:45], v[74:75], -v[80:81]
	v_add_f64_e32 v[10:11], v[10:11], v[82:83]
	v_add_f64_e32 v[140:141], v[140:141], v[86:87]
	v_add_f64_e64 v[54:55], v[86:87], -v[54:55]
	v_mul_f64_e32 v[74:75], s[16:17], v[142:143]
	v_mul_f64_e32 v[38:39], s[22:23], v[38:39]
	v_add_f64_e32 v[36:37], v[36:37], v[14:15]
	v_add_f64_e64 v[14:15], v[14:15], -v[26:27]
	v_add_f64_e32 v[2:3], v[2:3], v[138:139]
	v_add_f64_e64 v[72:73], v[62:63], -v[84:85]
	v_add_f64_e32 v[8:9], v[8:9], v[70:71]
	v_add_f64_e32 v[60:61], v[62:63], v[84:85]
	v_add_f64_e64 v[84:85], v[84:85], -v[50:51]
	v_mul_f64_e32 v[114:115], s[22:23], v[114:115]
	v_fma_f64 v[58:59], v[88:89], s[20:21], -v[58:59]
	v_mul_f64_e32 v[44:45], s[26:27], v[44:45]
	v_fma_f64 v[150:151], v[82:83], s[18:19], v[10:11]
	v_mul_f64_e32 v[144:145], s[22:23], v[72:73]
	v_fma_f64 v[148:149], v[70:71], s[18:19], v[8:9]
	v_add_f64_e32 v[146:147], v[60:61], v[50:51]
	v_mul_f64_e32 v[60:61], s[8:9], v[112:113]
	v_add_f64_e64 v[50:51], v[50:51], -v[62:63]
	v_mul_f64_e32 v[62:63], s[16:17], v[84:85]
	v_fma_f64 v[70:71], v[84:85], s[16:17], -v[144:145]
	v_mul_f64_e32 v[84:85], s[26:27], v[40:41]
	v_add_f64_e32 v[82:83], v[58:59], v[148:149]
	v_fma_f64 v[60:61], v[42:43], s[20:21], -v[60:61]
	s_wait_alu 0xfffe
	v_fma_f64 v[42:43], v[42:43], s[28:29], -v[44:45]
	v_fma_f64 v[40:41], v[50:51], s[30:31], -v[62:63]
	;; [unrolled: 1-line block ×3, first 2 shown]
	v_fma_f64 v[50:51], v[50:51], s[24:25], v[144:145]
	v_fma_f64 v[44:45], v[112:113], s[8:9], v[44:45]
	;; [unrolled: 1-line block ×5, first 2 shown]
	v_fma_f64 v[70:71], v[142:143], s[16:17], -v[114:115]
	v_fma_f64 v[74:75], v[88:89], s[28:29], -v[84:85]
	v_add_f64_e32 v[153:154], v[60:61], v[150:151]
	v_add_f64_e32 v[86:87], v[42:43], v[150:151]
	v_fma_f64 v[62:63], v[140:141], s[14:15], v[62:63]
	v_fma_f64 v[50:51], v[146:147], s[14:15], v[50:51]
	v_add_f64_e32 v[44:45], v[44:45], v[150:151]
	v_fma_f64 v[54:55], v[140:141], s[14:15], v[54:55]
	v_fma_f64 v[70:71], v[140:141], s[14:15], v[70:71]
	v_add_f64_e32 v[74:75], v[74:75], v[148:149]
	v_add_f64_e32 v[60:61], v[72:73], v[153:154]
	v_add_f64_e64 v[72:73], v[153:154], -v[72:73]
	s_delay_alu instid0(VALU_DEP_4)
	v_add_f64_e64 v[58:59], v[82:83], -v[70:71]
	v_add_f64_e32 v[70:71], v[70:71], v[82:83]
	v_fma_f64 v[82:83], v[146:147], s[14:15], v[40:41]
	v_add_f64_e32 v[40:41], v[62:63], v[74:75]
	v_add_f64_e64 v[80:81], v[74:75], -v[62:63]
	v_fma_f64 v[62:63], v[90:91], s[8:9], v[84:85]
	v_add_f64_e32 v[90:91], v[50:51], v[44:45]
	v_add_f64_e64 v[74:75], v[118:119], -v[116:117]
	v_add_f64_e64 v[42:43], v[86:87], -v[82:83]
	v_add_f64_e32 v[82:83], v[82:83], v[86:87]
	v_add_f64_e64 v[86:87], v[44:45], -v[50:51]
	v_add_f64_e64 v[44:45], v[104:105], -v[46:47]
	;; [unrolled: 1-line block ×3, first 2 shown]
	v_add_f64_e32 v[62:63], v[62:63], v[148:149]
	v_add_f64_e64 v[30:31], v[106:107], -v[48:49]
	v_add_f64_e64 v[48:49], v[100:101], -v[108:109]
	;; [unrolled: 1-line block ×5, first 2 shown]
	v_add_f64_e32 v[84:85], v[54:55], v[62:63]
	v_add_f64_e64 v[88:89], v[62:63], -v[54:55]
	v_add_f64_e64 v[54:55], v[102:103], -v[110:111]
	;; [unrolled: 1-line block ×3, first 2 shown]
	v_add_f64_e32 v[28:29], v[50:51], v[44:45]
	v_add_f64_e64 v[100:101], v[44:45], -v[48:49]
	v_add_f64_e64 v[44:45], v[52:53], -v[30:31]
	v_add_f64_e32 v[102:103], v[52:53], v[30:31]
	v_add_f64_e64 v[94:95], v[120:121], -v[118:119]
	v_add_f64_e64 v[96:97], v[116:117], -v[120:121]
	v_mul_f64_e32 v[92:93], s[26:27], v[92:93]
	v_mul_f64_e32 v[108:109], s[22:23], v[46:47]
	v_add_f64_e64 v[104:105], v[30:31], -v[54:55]
	v_add_f64_e64 v[116:117], v[54:55], -v[52:53]
	v_add_f64_e32 v[106:107], v[28:29], v[48:49]
	v_mul_f64_e32 v[28:29], s[8:9], v[62:63]
	v_mul_f64_e32 v[110:111], s[22:23], v[44:45]
	v_add_f64_e32 v[102:103], v[102:103], v[54:55]
	v_mul_f64_e32 v[30:31], s[8:9], v[94:95]
	v_mul_f64_e32 v[96:97], s[26:27], v[96:97]
	v_fma_f64 v[52:53], v[56:57], s[28:29], -v[92:93]
	v_fma_f64 v[62:63], v[62:63], s[8:9], v[92:93]
	v_fma_f64 v[44:45], v[100:101], s[16:17], -v[108:109]
	v_fma_f64 v[28:29], v[56:57], s[20:21], -v[28:29]
	;; [unrolled: 1-line block ×4, first 2 shown]
	v_add_f64_e32 v[52:53], v[52:53], v[98:99]
	v_fma_f64 v[92:93], v[94:95], s[8:9], v[96:97]
	v_add_f64_e32 v[62:63], v[62:63], v[98:99]
	v_fma_f64 v[46:47], v[106:107], s[14:15], v[44:45]
	v_fma_f64 v[44:45], v[104:105], s[16:17], -v[110:111]
	v_add_f64_e32 v[114:115], v[28:29], v[98:99]
	v_add_f64_e32 v[118:119], v[30:31], v[112:113]
	;; [unrolled: 1-line block ×4, first 2 shown]
	v_fma_f64 v[44:45], v[102:103], s[14:15], v[44:45]
	s_delay_alu instid0(VALU_DEP_4) | instskip(SKIP_1) | instid1(VALU_DEP_3)
	v_add_f64_e32 v[30:31], v[46:47], v[118:119]
	v_add_f64_e64 v[46:47], v[118:119], -v[46:47]
	v_add_f64_e64 v[28:29], v[114:115], -v[44:45]
	v_add_f64_e32 v[44:45], v[44:45], v[114:115]
	v_add_f64_e64 v[114:115], v[48:49], -v[50:51]
	v_mul_f64_e32 v[50:51], s[16:17], v[104:105]
	v_mul_f64_e32 v[48:49], s[16:17], v[100:101]
	;; [unrolled: 1-line block ×3, first 2 shown]
	v_fma_f64 v[104:105], v[138:139], s[18:19], v[2:3]
	s_delay_alu instid0(VALU_DEP_4) | instskip(NEXT) | instid1(VALU_DEP_4)
	v_fma_f64 v[50:51], v[116:117], s[30:31], -v[50:51]
	v_fma_f64 v[48:49], v[114:115], s[30:31], -v[48:49]
	s_delay_alu instid0(VALU_DEP_4) | instskip(NEXT) | instid1(VALU_DEP_3)
	v_fma_f64 v[100:101], v[32:33], s[20:21], -v[100:101]
	v_fma_f64 v[74:75], v[102:103], s[14:15], v[50:51]
	s_delay_alu instid0(VALU_DEP_3) | instskip(NEXT) | instid1(VALU_DEP_3)
	v_fma_f64 v[56:57], v[106:107], s[14:15], v[48:49]
	v_add_f64_e32 v[100:101], v[100:101], v[104:105]
	s_delay_alu instid0(VALU_DEP_3)
	v_add_f64_e32 v[48:49], v[74:75], v[52:53]
	v_add_f64_e64 v[52:53], v[52:53], -v[74:75]
	v_fma_f64 v[74:75], v[116:117], s[24:25], v[110:111]
	v_add_f64_e64 v[50:51], v[54:55], -v[56:57]
	v_add_f64_e32 v[54:55], v[56:57], v[54:55]
	v_fma_f64 v[56:57], v[114:115], s[24:25], v[108:109]
	s_delay_alu instid0(VALU_DEP_4) | instskip(SKIP_1) | instid1(VALU_DEP_3)
	v_fma_f64 v[74:75], v[102:103], s[14:15], v[74:75]
	v_fma_f64 v[102:103], v[130:131], s[18:19], v[0:1]
	;; [unrolled: 1-line block ×3, first 2 shown]
	v_fma_f64 v[106:107], v[18:19], s[16:17], -v[38:39]
	v_mul_f64_e32 v[18:19], s[16:17], v[18:19]
	v_add_f64_e32 v[92:93], v[74:75], v[62:63]
	v_add_f64_e64 v[96:97], v[62:63], -v[74:75]
	v_add_f64_e64 v[62:63], v[22:23], -v[16:17]
	;; [unrolled: 1-line block ×3, first 2 shown]
	v_add_f64_e32 v[98:99], v[56:57], v[98:99]
	v_add_f64_e32 v[56:57], v[22:23], v[16:17]
	v_add_f64_e64 v[16:17], v[16:17], -v[12:13]
	v_mul_f64_e32 v[74:75], s[8:9], v[24:25]
	v_fma_f64 v[106:107], v[36:37], s[14:15], v[106:107]
	v_fma_f64 v[18:19], v[14:15], s[30:31], -v[18:19]
	v_fma_f64 v[14:15], v[14:15], s[24:25], v[38:39]
	v_mul_f64_e32 v[62:63], s[22:23], v[62:63]
	v_add_f64_e32 v[56:57], v[56:57], v[12:13]
	v_add_f64_e64 v[12:13], v[12:13], -v[22:23]
	v_fma_f64 v[74:75], v[20:21], s[20:21], -v[74:75]
	v_add_f64_e32 v[158:159], v[106:107], v[100:101]
	v_add_f64_e64 v[166:167], v[100:101], -v[106:107]
	v_add_f64_e64 v[100:101], v[132:133], -v[136:137]
	v_fma_f64 v[18:19], v[36:37], s[14:15], v[18:19]
	v_fma_f64 v[14:15], v[36:37], s[14:15], v[14:15]
	v_fma_f64 v[108:109], v[16:17], s[16:17], -v[62:63]
	v_mul_f64_e32 v[16:17], s[16:17], v[16:17]
	v_add_f64_e32 v[74:75], v[74:75], v[102:103]
	v_mul_f64_e32 v[26:27], s[26:27], v[100:101]
	s_delay_alu instid0(VALU_DEP_4) | instskip(NEXT) | instid1(VALU_DEP_4)
	v_fma_f64 v[108:109], v[56:57], s[14:15], v[108:109]
	v_fma_f64 v[16:17], v[12:13], s[30:31], -v[16:17]
	v_fma_f64 v[12:13], v[12:13], s[24:25], v[62:63]
	s_delay_alu instid0(VALU_DEP_4) | instskip(NEXT) | instid1(VALU_DEP_4)
	v_fma_f64 v[32:33], v[32:33], s[28:29], -v[26:27]
	v_add_f64_e64 v[156:157], v[74:75], -v[108:109]
	v_add_f64_e32 v[164:165], v[108:109], v[74:75]
	v_add_f64_e64 v[74:75], v[124:125], -v[128:129]
	v_fma_f64 v[16:17], v[56:57], s[14:15], v[16:17]
	v_fma_f64 v[12:13], v[56:57], s[14:15], v[12:13]
	v_add_f64_e32 v[32:33], v[32:33], v[104:105]
	s_delay_alu instid0(VALU_DEP_4) | instskip(NEXT) | instid1(VALU_DEP_2)
	v_mul_f64_e32 v[22:23], s[26:27], v[74:75]
	v_add_f64_e64 v[170:171], v[32:33], -v[18:19]
	v_add_f64_e32 v[174:175], v[18:19], v[32:33]
	v_fma_f64 v[18:19], v[34:35], s[8:9], v[26:27]
	s_delay_alu instid0(VALU_DEP_4) | instskip(NEXT) | instid1(VALU_DEP_2)
	v_fma_f64 v[20:21], v[20:21], s[28:29], -v[22:23]
	v_add_f64_e32 v[18:19], v[18:19], v[104:105]
	s_delay_alu instid0(VALU_DEP_2) | instskip(NEXT) | instid1(VALU_DEP_2)
	v_add_f64_e32 v[20:21], v[20:21], v[102:103]
	v_add_f64_e64 v[178:179], v[18:19], -v[14:15]
	v_add_f64_e32 v[162:163], v[14:15], v[18:19]
	s_delay_alu instid0(VALU_DEP_3) | instskip(SKIP_2) | instid1(VALU_DEP_1)
	v_add_f64_e32 v[168:169], v[16:17], v[20:21]
	v_add_f64_e64 v[172:173], v[20:21], -v[16:17]
	v_fma_f64 v[16:17], v[24:25], s[8:9], v[22:23]
	v_add_f64_e32 v[16:17], v[16:17], v[102:103]
	s_delay_alu instid0(VALU_DEP_1) | instskip(SKIP_2) | instid1(VALU_DEP_1)
	v_add_f64_e32 v[176:177], v[12:13], v[16:17]
	v_add_f64_e64 v[160:161], v[16:17], -v[12:13]
	v_and_b32_e32 v12, 0xffff, v78
	v_mul_u32_u24_e32 v12, 0x5b, v12
	s_delay_alu instid0(VALU_DEP_1) | instskip(NEXT) | instid1(VALU_DEP_1)
	v_add_nc_u32_e32 v12, v12, v79
	v_lshl_add_u32 v12, v12, 4, v203
	ds_store_b128 v12, v[8:11]
	ds_store_b128 v12, v[84:87] offset:208
	ds_store_b128 v12, v[40:43] offset:416
	;; [unrolled: 1-line block ×5, first 2 shown]
	v_and_b32_e32 v8, 0xffff, v68
	scratch_store_b32 off, v12, off offset:432 ; 4-byte Folded Spill
	ds_store_b128 v12, v[88:91] offset:1248
	v_mul_u32_u24_e32 v8, 0x5b, v8
	s_delay_alu instid0(VALU_DEP_1) | instskip(NEXT) | instid1(VALU_DEP_1)
	v_add_nc_u32_e32 v8, v8, v69
	v_lshl_add_u32 v8, v8, 4, v203
	ds_store_b128 v8, v[4:7]
	ds_store_b128 v8, v[92:95] offset:208
	ds_store_b128 v8, v[48:51] offset:416
	;; [unrolled: 1-line block ×5, first 2 shown]
	v_and_b32_e32 v4, 0xffff, v66
	scratch_store_b32 off, v8, off offset:428 ; 4-byte Folded Spill
	ds_store_b128 v8, v[96:99] offset:1248
	scratch_store_b32 off, v4, off offset:408 ; 4-byte Folded Spill
	s_and_saveexec_b32 s1, s0
	s_cbranch_execz .LBB0_11
; %bb.10:
	scratch_load_b32 v4, off, off offset:408 ; 4-byte Folded Reload
	s_wait_loadcnt 0x0
	v_lshl_add_u32 v4, v4, 4, v203
	ds_store_b128 v4, v[0:3] offset:20384
	ds_store_b128 v4, v[176:179] offset:20592
	;; [unrolled: 1-line block ×7, first 2 shown]
.LBB0_11:
	s_wait_alu 0xfffe
	s_or_b32 exec_lo, exec_lo, s1
	v_lshlrev_b32_e32 v8, 6, v155
	global_wb scope:SCOPE_SE
	s_wait_storecnt_dscnt 0x0
	s_barrier_signal -1
	s_barrier_wait -1
	global_inv scope:SCOPE_SE
	s_clause 0x3
	global_load_b128 v[108:111], v8, s[2:3] offset:1248
	global_load_b128 v[104:107], v8, s[2:3] offset:1264
	;; [unrolled: 1-line block ×4, first 2 shown]
	ds_load_b128 v[4:7], v180 offset:4368
	ds_load_b128 v[0:3], v180 offset:8736
	;; [unrolled: 1-line block ×7, first 2 shown]
	s_mov_b32 s16, 0x134454ff
	s_mov_b32 s17, 0x3fee6f0e
	;; [unrolled: 1-line block ×3, first 2 shown]
	s_wait_alu 0xfffe
	s_mov_b32 s18, s16
	s_mov_b32 s8, 0x4755a5e
	;; [unrolled: 1-line block ×4, first 2 shown]
	s_wait_alu 0xfffe
	s_mov_b32 s14, s8
	s_mov_b32 s20, 0x372fe950
	;; [unrolled: 1-line block ×3, first 2 shown]
	v_lshl_add_u32 v181, v155, 4, v203
	s_wait_loadcnt_dscnt 0x306
	v_mul_f64_e32 v[29:30], v[6:7], v[110:111]
	s_wait_loadcnt_dscnt 0x205
	v_mul_f64_e32 v[33:34], v[2:3], v[106:107]
	v_mul_f64_e32 v[35:36], v[0:1], v[106:107]
	s_wait_loadcnt_dscnt 0x102
	v_mul_f64_e32 v[37:38], v[19:20], v[102:103]
	;; [unrolled: 3-line block ×3, first 2 shown]
	v_mul_f64_e32 v[43:44], v[21:22], v[114:115]
	v_mul_f64_e32 v[31:32], v[4:5], v[110:111]
	v_fma_f64 v[29:30], v[4:5], v[108:109], -v[29:30]
	v_fma_f64 v[33:34], v[0:1], v[104:105], -v[33:34]
	v_fma_f64 v[35:36], v[2:3], v[104:105], v[35:36]
	ds_load_b128 v[0:3], v180 offset:5824
	v_fma_f64 v[37:38], v[17:18], v[100:101], -v[37:38]
	v_fma_f64 v[39:40], v[19:20], v[100:101], v[39:40]
	ds_load_b128 v[17:20], v180 offset:7280
	v_fma_f64 v[21:22], v[21:22], v[112:113], -v[41:42]
	v_fma_f64 v[23:24], v[23:24], v[112:113], v[43:44]
	v_fma_f64 v[31:32], v[6:7], v[108:109], v[31:32]
	ds_load_b128 v[4:7], v180 offset:18928
	s_wait_dscnt 0x2
	v_mul_f64_e32 v[41:42], v[2:3], v[110:111]
	v_add_f64_e64 v[84:85], v[33:34], -v[37:38]
	v_add_f64_e64 v[80:81], v[35:36], -v[39:40]
	;; [unrolled: 1-line block ×4, first 2 shown]
	v_fma_f64 v[41:42], v[0:1], v[108:109], -v[41:42]
	v_mul_f64_e32 v[0:1], v[0:1], v[110:111]
	s_delay_alu instid0(VALU_DEP_1) | instskip(SKIP_1) | instid1(VALU_DEP_1)
	v_fma_f64 v[43:44], v[2:3], v[108:109], v[0:1]
	v_mul_f64_e32 v[0:1], v[15:16], v[106:107]
	v_fma_f64 v[45:46], v[13:14], v[104:105], -v[0:1]
	v_mul_f64_e32 v[0:1], v[13:14], v[106:107]
	s_delay_alu instid0(VALU_DEP_1) | instskip(SKIP_4) | instid1(VALU_DEP_1)
	v_fma_f64 v[47:48], v[15:16], v[104:105], v[0:1]
	ds_load_b128 v[0:3], v180 offset:14560
	ds_load_b128 v[13:16], v180 offset:16016
	s_wait_dscnt 0x1
	v_mul_f64_e32 v[49:50], v[2:3], v[102:103]
	v_fma_f64 v[49:50], v[0:1], v[100:101], -v[49:50]
	v_mul_f64_e32 v[0:1], v[0:1], v[102:103]
	s_delay_alu instid0(VALU_DEP_1) | instskip(SKIP_1) | instid1(VALU_DEP_1)
	v_fma_f64 v[51:52], v[2:3], v[100:101], v[0:1]
	v_mul_f64_e32 v[0:1], v[6:7], v[114:115]
	v_fma_f64 v[53:54], v[4:5], v[112:113], -v[0:1]
	v_mul_f64_e32 v[0:1], v[4:5], v[114:115]
	s_delay_alu instid0(VALU_DEP_1) | instskip(SKIP_1) | instid1(VALU_DEP_1)
	v_fma_f64 v[55:56], v[6:7], v[112:113], v[0:1]
	v_mul_u32_u24_e32 v0, 0x6817, v65
	v_lshrrev_b32_e32 v0, 16, v0
	s_delay_alu instid0(VALU_DEP_1) | instskip(NEXT) | instid1(VALU_DEP_1)
	v_sub_nc_u16 v1, v64, v0
	v_lshrrev_b16 v1, 1, v1
	s_delay_alu instid0(VALU_DEP_1) | instskip(NEXT) | instid1(VALU_DEP_1)
	v_add_nc_u16 v0, v1, v0
	v_lshrrev_b16 v0, 6, v0
	s_delay_alu instid0(VALU_DEP_1) | instskip(NEXT) | instid1(VALU_DEP_1)
	v_mul_lo_u16 v0, 0x5b, v0
	v_sub_nc_u16 v63, v64, v0
	s_delay_alu instid0(VALU_DEP_1) | instskip(NEXT) | instid1(VALU_DEP_1)
	v_lshlrev_b16 v0, 6, v63
	v_and_b32_e32 v0, 0xffff, v0
	s_delay_alu instid0(VALU_DEP_1)
	v_add_co_u32 v0, s1, s2, v0
	s_wait_alu 0xf1ff
	v_add_co_ci_u32_e64 v1, null, s3, 0, s1
	s_clause 0x1
	global_load_b128 v[59:62], v[0:1], off offset:1248
	global_load_b128 v[4:7], v[0:1], off offset:1264
	s_wait_loadcnt 0x1
	v_mul_f64_e32 v[2:3], v[19:20], v[61:62]
	scratch_store_b128 off, v[59:62], off offset:488 ; 16-byte Folded Spill
	s_wait_loadcnt 0x0
	scratch_store_b128 off, v[4:7], off offset:472 ; 16-byte Folded Spill
	v_fma_f64 v[57:58], v[17:18], v[59:60], -v[2:3]
	v_mul_f64_e32 v[2:3], v[17:18], v[61:62]
	s_delay_alu instid0(VALU_DEP_1) | instskip(SKIP_1) | instid1(VALU_DEP_1)
	v_fma_f64 v[59:60], v[19:20], v[59:60], v[2:3]
	v_mul_f64_e32 v[2:3], v[27:28], v[6:7]
	v_fma_f64 v[61:62], v[25:26], v[4:5], -v[2:3]
	v_mul_f64_e32 v[2:3], v[25:26], v[6:7]
	s_delay_alu instid0(VALU_DEP_1)
	v_fma_f64 v[65:66], v[27:28], v[4:5], v[2:3]
	s_clause 0x1
	global_load_b128 v[2:5], v[0:1], off offset:1280
	global_load_b128 v[17:20], v[0:1], off offset:1296
	s_wait_loadcnt_dscnt 0x100
	v_mul_f64_e32 v[0:1], v[15:16], v[4:5]
	scratch_store_b128 off, v[2:5], off offset:520 ; 16-byte Folded Spill
	s_wait_loadcnt 0x0
	scratch_store_b128 off, v[17:20], off offset:504 ; 16-byte Folded Spill
	v_fma_f64 v[67:68], v[13:14], v[2:3], -v[0:1]
	v_mul_f64_e32 v[0:1], v[13:14], v[4:5]
	v_add_f64_e32 v[13:14], v[33:34], v[37:38]
	s_delay_alu instid0(VALU_DEP_2) | instskip(SKIP_3) | instid1(VALU_DEP_1)
	v_fma_f64 v[69:70], v[15:16], v[2:3], v[0:1]
	ds_load_b128 v[0:3], v180 offset:20384
	s_wait_dscnt 0x0
	v_mul_f64_e32 v[4:5], v[2:3], v[19:20]
	v_fma_f64 v[71:72], v[0:1], v[17:18], -v[4:5]
	v_mul_f64_e32 v[0:1], v[0:1], v[19:20]
	s_delay_alu instid0(VALU_DEP_1) | instskip(SKIP_2) | instid1(VALU_DEP_1)
	v_fma_f64 v[73:74], v[2:3], v[17:18], v[0:1]
	v_add_f64_e64 v[0:1], v[29:30], -v[33:34]
	v_add_f64_e64 v[2:3], v[21:22], -v[37:38]
	v_add_f64_e32 v[17:18], v[0:1], v[2:3]
	v_add_f64_e64 v[0:1], v[31:32], -v[35:36]
	v_add_f64_e64 v[2:3], v[23:24], -v[39:40]
	s_delay_alu instid0(VALU_DEP_1)
	v_add_f64_e32 v[19:20], v[0:1], v[2:3]
	ds_load_b128 v[0:3], v180
	ds_load_b128 v[4:7], v180 offset:1456
	global_wb scope:SCOPE_SE
	s_wait_storecnt_dscnt 0x0
	s_barrier_signal -1
	s_barrier_wait -1
	global_inv scope:SCOPE_SE
	v_fma_f64 v[25:26], v[13:14], -0.5, v[0:1]
	v_add_f64_e32 v[13:14], v[35:36], v[39:40]
	s_delay_alu instid0(VALU_DEP_1) | instskip(NEXT) | instid1(VALU_DEP_3)
	v_fma_f64 v[27:28], v[13:14], -0.5, v[2:3]
	v_fma_f64 v[13:14], v[78:79], s[16:17], v[25:26]
	v_fma_f64 v[25:26], v[78:79], s[18:19], v[25:26]
	s_delay_alu instid0(VALU_DEP_3) | instskip(SKIP_1) | instid1(VALU_DEP_4)
	v_fma_f64 v[15:16], v[82:83], s[18:19], v[27:28]
	v_fma_f64 v[27:28], v[82:83], s[16:17], v[27:28]
	;; [unrolled: 1-line block ×3, first 2 shown]
	s_wait_alu 0xfffe
	s_delay_alu instid0(VALU_DEP_4) | instskip(NEXT) | instid1(VALU_DEP_4)
	v_fma_f64 v[25:26], v[80:81], s[14:15], v[25:26]
	v_fma_f64 v[15:16], v[84:85], s[14:15], v[15:16]
	s_delay_alu instid0(VALU_DEP_4) | instskip(NEXT) | instid1(VALU_DEP_4)
	v_fma_f64 v[27:28], v[84:85], s[8:9], v[27:28]
	v_fma_f64 v[13:14], v[17:18], s[20:21], v[13:14]
	s_delay_alu instid0(VALU_DEP_4) | instskip(SKIP_4) | instid1(VALU_DEP_4)
	v_fma_f64 v[17:18], v[17:18], s[20:21], v[25:26]
	v_add_f64_e32 v[25:26], v[29:30], v[21:22]
	v_fma_f64 v[15:16], v[19:20], s[20:21], v[15:16]
	v_fma_f64 v[19:20], v[19:20], s[20:21], v[27:28]
	v_add_f64_e32 v[27:28], v[31:32], v[23:24]
	v_fma_f64 v[25:26], v[25:26], -0.5, v[0:1]
	v_add_f64_e32 v[0:1], v[0:1], v[29:30]
	v_add_f64_e64 v[29:30], v[33:34], -v[29:30]
	s_delay_alu instid0(VALU_DEP_4) | instskip(SKIP_4) | instid1(VALU_DEP_4)
	v_fma_f64 v[27:28], v[27:28], -0.5, v[2:3]
	v_add_f64_e32 v[2:3], v[2:3], v[31:32]
	v_add_f64_e64 v[31:32], v[35:36], -v[31:32]
	v_add_f64_e32 v[0:1], v[0:1], v[33:34]
	v_add_f64_e64 v[33:34], v[37:38], -v[21:22]
	v_add_f64_e32 v[2:3], v[2:3], v[35:36]
	v_fma_f64 v[35:36], v[84:85], s[16:17], v[27:28]
	s_delay_alu instid0(VALU_DEP_4)
	v_add_f64_e32 v[0:1], v[0:1], v[37:38]
	v_fma_f64 v[27:28], v[84:85], s[18:19], v[27:28]
	v_add_f64_e32 v[29:30], v[29:30], v[33:34]
	v_add_f64_e64 v[84:85], v[45:46], -v[49:50]
	v_add_f64_e32 v[2:3], v[2:3], v[39:40]
	v_add_f64_e32 v[0:1], v[0:1], v[21:22]
	v_add_f64_e64 v[21:22], v[39:40], -v[23:24]
	v_fma_f64 v[27:28], v[82:83], s[8:9], v[27:28]
	s_delay_alu instid0(VALU_DEP_4) | instskip(SKIP_4) | instid1(VALU_DEP_4)
	v_add_f64_e32 v[2:3], v[2:3], v[23:24]
	v_fma_f64 v[23:24], v[80:81], s[18:19], v[25:26]
	v_fma_f64 v[25:26], v[80:81], s[16:17], v[25:26]
	v_add_f64_e32 v[31:32], v[31:32], v[21:22]
	v_add_f64_e64 v[80:81], v[47:48], -v[51:52]
	v_fma_f64 v[21:22], v[78:79], s[8:9], v[23:24]
	s_delay_alu instid0(VALU_DEP_4)
	v_fma_f64 v[25:26], v[78:79], s[14:15], v[25:26]
	v_fma_f64 v[23:24], v[82:83], s[14:15], v[35:36]
	;; [unrolled: 1-line block ×3, first 2 shown]
	v_add_f64_e64 v[78:79], v[43:44], -v[55:56]
	v_add_f64_e64 v[82:83], v[41:42], -v[53:54]
	v_fma_f64 v[21:22], v[29:30], s[20:21], v[21:22]
	v_fma_f64 v[25:26], v[29:30], s[20:21], v[25:26]
	;; [unrolled: 1-line block ×3, first 2 shown]
	v_add_f64_e64 v[29:30], v[41:42], -v[45:46]
	v_add_f64_e64 v[31:32], v[53:54], -v[49:50]
	s_delay_alu instid0(VALU_DEP_1) | instskip(SKIP_2) | instid1(VALU_DEP_1)
	v_add_f64_e32 v[33:34], v[29:30], v[31:32]
	v_add_f64_e64 v[29:30], v[43:44], -v[47:48]
	v_add_f64_e64 v[31:32], v[55:56], -v[51:52]
	v_add_f64_e32 v[35:36], v[29:30], v[31:32]
	v_add_f64_e32 v[29:30], v[45:46], v[49:50]
	s_delay_alu instid0(VALU_DEP_1) | instskip(SKIP_1) | instid1(VALU_DEP_1)
	v_fma_f64 v[37:38], v[29:30], -0.5, v[4:5]
	v_add_f64_e32 v[29:30], v[47:48], v[51:52]
	v_fma_f64 v[39:40], v[29:30], -0.5, v[6:7]
	s_delay_alu instid0(VALU_DEP_3) | instskip(SKIP_1) | instid1(VALU_DEP_3)
	v_fma_f64 v[29:30], v[78:79], s[16:17], v[37:38]
	v_fma_f64 v[37:38], v[78:79], s[18:19], v[37:38]
	;; [unrolled: 1-line block ×3, first 2 shown]
	s_delay_alu instid0(VALU_DEP_3) | instskip(SKIP_1) | instid1(VALU_DEP_4)
	v_fma_f64 v[29:30], v[80:81], s[8:9], v[29:30]
	v_fma_f64 v[39:40], v[82:83], s[16:17], v[39:40]
	;; [unrolled: 1-line block ×3, first 2 shown]
	s_delay_alu instid0(VALU_DEP_4) | instskip(NEXT) | instid1(VALU_DEP_4)
	v_fma_f64 v[31:32], v[84:85], s[14:15], v[31:32]
	v_fma_f64 v[29:30], v[33:34], s[20:21], v[29:30]
	s_delay_alu instid0(VALU_DEP_4) | instskip(NEXT) | instid1(VALU_DEP_4)
	v_fma_f64 v[39:40], v[84:85], s[8:9], v[39:40]
	v_fma_f64 v[33:34], v[33:34], s[20:21], v[37:38]
	v_add_f64_e32 v[37:38], v[41:42], v[53:54]
	v_fma_f64 v[31:32], v[35:36], s[20:21], v[31:32]
	s_delay_alu instid0(VALU_DEP_4) | instskip(SKIP_1) | instid1(VALU_DEP_4)
	v_fma_f64 v[35:36], v[35:36], s[20:21], v[39:40]
	v_add_f64_e32 v[39:40], v[43:44], v[55:56]
	v_fma_f64 v[37:38], v[37:38], -0.5, v[4:5]
	v_add_f64_e32 v[4:5], v[4:5], v[41:42]
	v_add_f64_e64 v[41:42], v[45:46], -v[41:42]
	s_delay_alu instid0(VALU_DEP_4) | instskip(SKIP_1) | instid1(VALU_DEP_4)
	v_fma_f64 v[39:40], v[39:40], -0.5, v[6:7]
	v_add_f64_e32 v[6:7], v[6:7], v[43:44]
	v_add_f64_e32 v[4:5], v[4:5], v[45:46]
	v_add_f64_e64 v[43:44], v[47:48], -v[43:44]
	v_add_f64_e64 v[45:46], v[49:50], -v[53:54]
	s_delay_alu instid0(VALU_DEP_4) | instskip(NEXT) | instid1(VALU_DEP_4)
	v_add_f64_e32 v[6:7], v[6:7], v[47:48]
	v_add_f64_e32 v[4:5], v[4:5], v[49:50]
	v_add_f64_e64 v[47:48], v[51:52], -v[55:56]
	v_fma_f64 v[49:50], v[80:81], s[18:19], v[37:38]
	v_fma_f64 v[37:38], v[80:81], s[16:17], v[37:38]
	v_add_f64_e32 v[41:42], v[41:42], v[45:46]
	v_add_f64_e64 v[80:81], v[59:60], -v[73:74]
	v_add_f64_e32 v[6:7], v[6:7], v[51:52]
	v_fma_f64 v[51:52], v[84:85], s[16:17], v[39:40]
	v_add_f64_e32 v[43:44], v[43:44], v[47:48]
	v_fma_f64 v[45:46], v[78:79], s[8:9], v[49:50]
	v_fma_f64 v[47:48], v[78:79], s[14:15], v[37:38]
	;; [unrolled: 1-line block ×3, first 2 shown]
	v_add_f64_e32 v[4:5], v[4:5], v[53:54]
	v_add_f64_e64 v[78:79], v[65:66], -v[69:70]
	v_add_f64_e64 v[84:85], v[57:58], -v[71:72]
	v_add_f64_e32 v[6:7], v[6:7], v[55:56]
	v_fma_f64 v[49:50], v[82:83], s[14:15], v[51:52]
	v_fma_f64 v[37:38], v[41:42], s[20:21], v[45:46]
	;; [unrolled: 1-line block ×3, first 2 shown]
	v_add_f64_e64 v[45:46], v[61:62], -v[57:58]
	v_add_f64_e64 v[47:48], v[67:68], -v[71:72]
	v_fma_f64 v[51:52], v[82:83], s[8:9], v[39:40]
	v_add_f64_e64 v[82:83], v[61:62], -v[67:68]
	v_fma_f64 v[39:40], v[43:44], s[20:21], v[49:50]
	s_delay_alu instid0(VALU_DEP_4)
	v_add_f64_e32 v[49:50], v[45:46], v[47:48]
	v_add_f64_e64 v[45:46], v[65:66], -v[59:60]
	v_add_f64_e64 v[47:48], v[69:70], -v[73:74]
	v_fma_f64 v[43:44], v[43:44], s[20:21], v[51:52]
	ds_store_b128 v180, v[0:3]
	ds_store_b128 v180, v[13:16] offset:1456
	ds_store_b128 v180, v[21:24] offset:2912
	;; [unrolled: 1-line block ×8, first 2 shown]
	v_lshlrev_b32_e32 v4, 5, v155
	v_add_co_u32 v0, s1, s2, v8
	s_wait_alu 0xf1ff
	v_add_co_ci_u32_e64 v1, null, s3, 0, s1
	v_and_b32_e32 v2, 0xffff, v63
	v_add_f64_e32 v[51:52], v[45:46], v[47:48]
	v_add_f64_e32 v[45:46], v[57:58], v[71:72]
	v_sub_co_u32 v0, s1, v0, v4
	s_wait_alu 0xf1ff
	v_subrev_co_ci_u32_e64 v1, s1, 0, v1, s1
	v_lshl_add_u32 v2, v2, 4, v203
	s_delay_alu instid0(VALU_DEP_4) | instskip(SKIP_1) | instid1(VALU_DEP_1)
	v_fma_f64 v[53:54], v[45:46], -0.5, v[9:10]
	v_add_f64_e32 v[45:46], v[59:60], v[73:74]
	v_fma_f64 v[55:56], v[45:46], -0.5, v[11:12]
	s_delay_alu instid0(VALU_DEP_3) | instskip(SKIP_1) | instid1(VALU_DEP_3)
	v_fma_f64 v[45:46], v[78:79], s[18:19], v[53:54]
	v_fma_f64 v[53:54], v[78:79], s[16:17], v[53:54]
	;; [unrolled: 1-line block ×4, first 2 shown]
	s_delay_alu instid0(VALU_DEP_4) | instskip(NEXT) | instid1(VALU_DEP_4)
	v_fma_f64 v[45:46], v[80:81], s[8:9], v[45:46]
	v_fma_f64 v[53:54], v[80:81], s[14:15], v[53:54]
	s_delay_alu instid0(VALU_DEP_4) | instskip(NEXT) | instid1(VALU_DEP_4)
	v_fma_f64 v[47:48], v[84:85], s[14:15], v[47:48]
	v_fma_f64 v[55:56], v[84:85], s[8:9], v[55:56]
	;; [unrolled: 3-line block ×3, first 2 shown]
	v_add_f64_e32 v[53:54], v[61:62], v[67:68]
	v_fma_f64 v[47:48], v[51:52], s[20:21], v[47:48]
	v_fma_f64 v[51:52], v[51:52], s[20:21], v[55:56]
	v_add_f64_e32 v[55:56], v[65:66], v[69:70]
	s_delay_alu instid0(VALU_DEP_4) | instskip(SKIP_2) | instid1(VALU_DEP_4)
	v_fma_f64 v[53:54], v[53:54], -0.5, v[9:10]
	v_add_f64_e32 v[9:10], v[9:10], v[57:58]
	v_add_f64_e64 v[57:58], v[57:58], -v[61:62]
	v_fma_f64 v[55:56], v[55:56], -0.5, v[11:12]
	v_add_f64_e32 v[11:12], v[11:12], v[59:60]
	v_add_f64_e64 v[59:60], v[59:60], -v[65:66]
	v_add_f64_e32 v[9:10], v[9:10], v[61:62]
	v_add_f64_e64 v[61:62], v[71:72], -v[67:68]
	s_delay_alu instid0(VALU_DEP_4) | instskip(SKIP_1) | instid1(VALU_DEP_4)
	v_add_f64_e32 v[11:12], v[11:12], v[65:66]
	v_add_f64_e64 v[65:66], v[73:74], -v[69:70]
	v_add_f64_e32 v[9:10], v[9:10], v[67:68]
	v_fma_f64 v[67:68], v[80:81], s[16:17], v[53:54]
	v_fma_f64 v[53:54], v[80:81], s[18:19], v[53:54]
	v_add_f64_e32 v[57:58], v[57:58], v[61:62]
	v_add_f64_e32 v[11:12], v[11:12], v[69:70]
	v_fma_f64 v[69:70], v[84:85], s[18:19], v[55:56]
	v_fma_f64 v[55:56], v[84:85], s[16:17], v[55:56]
	v_add_f64_e32 v[59:60], v[59:60], v[65:66]
	v_fma_f64 v[61:62], v[78:79], s[8:9], v[67:68]
	v_fma_f64 v[65:66], v[78:79], s[14:15], v[53:54]
	v_add_f64_e32 v[9:10], v[9:10], v[71:72]
	v_add_f64_e32 v[11:12], v[11:12], v[73:74]
	v_fma_f64 v[67:68], v[82:83], s[14:15], v[69:70]
	v_fma_f64 v[69:70], v[82:83], s[8:9], v[55:56]
	s_mov_b32 s9, 0xbfebb67a
	v_fma_f64 v[53:54], v[57:58], s[20:21], v[61:62]
	v_fma_f64 v[57:58], v[57:58], s[20:21], v[65:66]
	s_delay_alu instid0(VALU_DEP_4) | instskip(NEXT) | instid1(VALU_DEP_4)
	v_fma_f64 v[55:56], v[59:60], s[20:21], v[67:68]
	v_fma_f64 v[59:60], v[59:60], s[20:21], v[69:70]
	ds_store_b128 v180, v[33:36] offset:13104
	ds_store_b128 v2, v[9:12] offset:14560
	;; [unrolled: 1-line block ×5, first 2 shown]
	scratch_store_b32 off, v2, off offset:468 ; 4-byte Folded Spill
	ds_store_b128 v2, v[57:60] offset:20384
	global_wb scope:SCOPE_SE
	s_wait_storecnt_dscnt 0x0
	s_barrier_signal -1
	s_barrier_wait -1
	global_inv scope:SCOPE_SE
	s_clause 0x1
	global_load_b128 v[19:22], v[0:1], off offset:7072
	global_load_b128 v[23:26], v[0:1], off offset:7088
	ds_load_b128 v[0:3], v180 offset:7280
	ds_load_b128 v[5:8], v180 offset:5824
	;; [unrolled: 1-line block ×3, first 2 shown]
	s_wait_loadcnt_dscnt 0x102
	v_mul_f64_e32 v[13:14], v[2:3], v[21:22]
	v_mul_f64_e32 v[15:16], v[0:1], v[21:22]
	scratch_store_b128 off, v[19:22], off offset:436 ; 16-byte Folded Spill
	s_wait_loadcnt 0x0
	scratch_store_b128 off, v[23:26], off offset:452 ; 16-byte Folded Spill
	v_fma_f64 v[17:18], v[0:1], v[19:20], -v[13:14]
	v_fma_f64 v[19:20], v[2:3], v[19:20], v[15:16]
	ds_load_b128 v[0:3], v180 offset:16016
	s_wait_dscnt 0x1
	v_mul_f64_e32 v[13:14], v[11:12], v[25:26]
	s_delay_alu instid0(VALU_DEP_1) | instskip(SKIP_1) | instid1(VALU_DEP_1)
	v_fma_f64 v[21:22], v[9:10], v[23:24], -v[13:14]
	v_mul_f64_e32 v[9:10], v[9:10], v[25:26]
	v_fma_f64 v[23:24], v[11:12], v[23:24], v[9:10]
	v_lshlrev_b32_e32 v9, 5, v77
	s_clause 0x1
	global_load_b128 v[27:30], v9, s[2:3] offset:7072
	global_load_b128 v[31:34], v9, s[2:3] offset:7088
	ds_load_b128 v[9:12], v180 offset:8736
	ds_load_b128 v[13:16], v180 offset:10192
	s_wait_loadcnt_dscnt 0x101
	v_mul_f64_e32 v[25:26], v[11:12], v[29:30]
	scratch_store_b128 off, v[27:30], off offset:552 ; 16-byte Folded Spill
	s_wait_loadcnt 0x0
	scratch_store_b128 off, v[31:34], off offset:536 ; 16-byte Folded Spill
	v_fma_f64 v[25:26], v[9:10], v[27:28], -v[25:26]
	v_mul_f64_e32 v[9:10], v[9:10], v[29:30]
	s_delay_alu instid0(VALU_DEP_1) | instskip(SKIP_1) | instid1(VALU_DEP_1)
	v_fma_f64 v[27:28], v[11:12], v[27:28], v[9:10]
	v_mul_f64_e32 v[9:10], v[2:3], v[33:34]
	v_fma_f64 v[29:30], v[0:1], v[31:32], -v[9:10]
	v_mul_f64_e32 v[0:1], v[0:1], v[33:34]
	s_delay_alu instid0(VALU_DEP_1)
	v_fma_f64 v[31:32], v[2:3], v[31:32], v[0:1]
	v_lshlrev_b32_e32 v0, 5, v64
	s_clause 0x1
	global_load_b128 v[9:12], v0, s[2:3] offset:7072
	global_load_b128 v[33:36], v0, s[2:3] offset:7088
	s_wait_loadcnt_dscnt 0x100
	v_mul_f64_e32 v[0:1], v[15:16], v[11:12]
	scratch_store_b128 off, v[9:12], off offset:584 ; 16-byte Folded Spill
	v_fma_f64 v[37:38], v[13:14], v[9:10], -v[0:1]
	v_mul_f64_e32 v[0:1], v[13:14], v[11:12]
	s_delay_alu instid0(VALU_DEP_1)
	v_fma_f64 v[39:40], v[15:16], v[9:10], v[0:1]
	ds_load_b128 v[0:3], v180 offset:17472
	ds_load_b128 v[9:12], v180 offset:18928
	s_wait_loadcnt 0x0
	scratch_store_b128 off, v[33:36], off offset:568 ; 16-byte Folded Spill
	s_wait_dscnt 0x1
	v_mul_f64_e32 v[13:14], v[2:3], v[35:36]
	s_delay_alu instid0(VALU_DEP_1) | instskip(SKIP_1) | instid1(VALU_DEP_2)
	v_fma_f64 v[41:42], v[0:1], v[33:34], -v[13:14]
	v_mul_f64_e32 v[0:1], v[0:1], v[35:36]
	v_add_f64_e32 v[61:62], v[37:38], v[41:42]
	s_delay_alu instid0(VALU_DEP_2)
	v_fma_f64 v[43:44], v[2:3], v[33:34], v[0:1]
	v_add_nc_u32_e32 v0, 0x2220, v4
	s_clause 0x1
	global_load_b128 v[47:50], v0, s[2:3] offset:7072
	global_load_b128 v[51:54], v0, s[2:3] offset:7088
	ds_load_b128 v[0:3], v180 offset:11648
	ds_load_b128 v[13:16], v180 offset:13104
	v_add_f64_e32 v[63:64], v[39:40], v[43:44]
	s_wait_loadcnt_dscnt 0x101
	v_mul_f64_e32 v[33:34], v[2:3], v[49:50]
	scratch_store_b128 off, v[47:50], off offset:616 ; 16-byte Folded Spill
	s_wait_loadcnt 0x0
	scratch_store_b128 off, v[51:54], off offset:600 ; 16-byte Folded Spill
	v_fma_f64 v[45:46], v[0:1], v[47:48], -v[33:34]
	v_mul_f64_e32 v[0:1], v[0:1], v[49:50]
	s_delay_alu instid0(VALU_DEP_1) | instskip(SKIP_1) | instid1(VALU_DEP_1)
	v_fma_f64 v[47:48], v[2:3], v[47:48], v[0:1]
	v_mul_f64_e32 v[0:1], v[11:12], v[53:54]
	v_fma_f64 v[49:50], v[9:10], v[51:52], -v[0:1]
	v_mul_f64_e32 v[0:1], v[9:10], v[53:54]
	s_delay_alu instid0(VALU_DEP_1)
	v_fma_f64 v[51:52], v[11:12], v[51:52], v[0:1]
	v_add_nc_u32_e32 v0, 0x2d80, v4
	s_clause 0x1
	global_load_b128 v[9:12], v0, s[2:3] offset:7072
	global_load_b128 v[33:36], v0, s[2:3] offset:7088
	s_mov_b32 s2, 0xe8584caa
	s_mov_b32 s3, 0x3febb67a
	s_wait_alu 0xfffe
	s_mov_b32 s8, s2
	s_wait_loadcnt_dscnt 0x100
	v_mul_f64_e32 v[0:1], v[15:16], v[11:12]
	scratch_store_b128 off, v[9:12], off offset:648 ; 16-byte Folded Spill
	s_wait_loadcnt 0x0
	scratch_store_b128 off, v[33:36], off offset:632 ; 16-byte Folded Spill
	v_fma_f64 v[53:54], v[13:14], v[9:10], -v[0:1]
	v_mul_f64_e32 v[0:1], v[13:14], v[11:12]
	v_add_f64_e32 v[13:14], v[17:18], v[21:22]
	s_delay_alu instid0(VALU_DEP_2) | instskip(SKIP_3) | instid1(VALU_DEP_1)
	v_fma_f64 v[55:56], v[15:16], v[9:10], v[0:1]
	ds_load_b128 v[0:3], v180 offset:20384
	s_wait_dscnt 0x0
	v_mul_f64_e32 v[9:10], v[2:3], v[35:36]
	v_fma_f64 v[57:58], v[0:1], v[33:34], -v[9:10]
	v_mul_f64_e32 v[0:1], v[0:1], v[35:36]
	s_delay_alu instid0(VALU_DEP_1)
	v_fma_f64 v[59:60], v[2:3], v[33:34], v[0:1]
	ds_load_b128 v[0:3], v180
	ds_load_b128 v[9:12], v180 offset:1456
	s_wait_dscnt 0x1
	v_fma_f64 v[15:16], v[13:14], -0.5, v[0:1]
	v_add_f64_e32 v[13:14], v[19:20], v[23:24]
	v_add_f64_e32 v[0:1], v[0:1], v[17:18]
	s_delay_alu instid0(VALU_DEP_2) | instskip(SKIP_2) | instid1(VALU_DEP_4)
	v_fma_f64 v[33:34], v[13:14], -0.5, v[2:3]
	v_add_f64_e32 v[2:3], v[2:3], v[19:20]
	v_add_f64_e64 v[19:20], v[19:20], -v[23:24]
	v_add_f64_e32 v[0:1], v[0:1], v[21:22]
	v_add_f64_e64 v[21:22], v[17:18], -v[21:22]
	s_delay_alu instid0(VALU_DEP_4) | instskip(NEXT) | instid1(VALU_DEP_4)
	v_add_f64_e32 v[2:3], v[2:3], v[23:24]
	v_fma_f64 v[13:14], v[19:20], s[2:3], v[15:16]
	s_wait_alu 0xfffe
	v_fma_f64 v[17:18], v[19:20], s[8:9], v[15:16]
	s_delay_alu instid0(VALU_DEP_4) | instskip(SKIP_3) | instid1(VALU_DEP_1)
	v_fma_f64 v[15:16], v[21:22], s[8:9], v[33:34]
	v_fma_f64 v[19:20], v[21:22], s[2:3], v[33:34]
	v_add_f64_e32 v[21:22], v[25:26], v[29:30]
	s_wait_dscnt 0x0
	v_fma_f64 v[23:24], v[21:22], -0.5, v[9:10]
	v_add_f64_e32 v[21:22], v[27:28], v[31:32]
	v_add_f64_e32 v[9:10], v[9:10], v[25:26]
	s_delay_alu instid0(VALU_DEP_2) | instskip(SKIP_2) | instid1(VALU_DEP_4)
	v_fma_f64 v[33:34], v[21:22], -0.5, v[11:12]
	v_add_f64_e32 v[11:12], v[11:12], v[27:28]
	v_add_f64_e64 v[27:28], v[27:28], -v[31:32]
	v_add_f64_e32 v[9:10], v[9:10], v[29:30]
	v_add_f64_e64 v[29:30], v[25:26], -v[29:30]
	s_delay_alu instid0(VALU_DEP_4) | instskip(NEXT) | instid1(VALU_DEP_4)
	v_add_f64_e32 v[11:12], v[11:12], v[31:32]
	v_fma_f64 v[21:22], v[27:28], s[2:3], v[23:24]
	v_fma_f64 v[25:26], v[27:28], s[8:9], v[23:24]
	s_delay_alu instid0(VALU_DEP_4)
	v_fma_f64 v[23:24], v[29:30], s[8:9], v[33:34]
	v_fma_f64 v[27:28], v[29:30], s[2:3], v[33:34]
	ds_load_b128 v[29:32], v180 offset:2912
	ds_load_b128 v[33:36], v180 offset:4368
	scratch_store_b32 off, v203, off offset:12 ; 4-byte Folded Spill
	s_wait_dscnt 0x1
	v_fma_f64 v[63:64], v[63:64], -0.5, v[31:32]
	v_add_f64_e32 v[31:32], v[31:32], v[39:40]
	v_fma_f64 v[61:62], v[61:62], -0.5, v[29:30]
	v_add_f64_e32 v[29:30], v[29:30], v[37:38]
	v_add_f64_e64 v[39:40], v[39:40], -v[43:44]
	s_delay_alu instid0(VALU_DEP_4) | instskip(SKIP_1) | instid1(VALU_DEP_4)
	v_add_f64_e32 v[31:32], v[31:32], v[43:44]
	v_add_f64_e64 v[43:44], v[37:38], -v[41:42]
	v_add_f64_e32 v[29:30], v[29:30], v[41:42]
	s_delay_alu instid0(VALU_DEP_4)
	v_fma_f64 v[37:38], v[39:40], s[2:3], v[61:62]
	v_fma_f64 v[41:42], v[39:40], s[8:9], v[61:62]
	v_add_f64_e32 v[61:62], v[45:46], v[49:50]
	v_fma_f64 v[39:40], v[43:44], s[8:9], v[63:64]
	v_fma_f64 v[43:44], v[43:44], s[2:3], v[63:64]
	v_add_f64_e32 v[63:64], v[47:48], v[51:52]
	s_wait_dscnt 0x0
	s_delay_alu instid0(VALU_DEP_4) | instskip(SKIP_1) | instid1(VALU_DEP_3)
	v_fma_f64 v[61:62], v[61:62], -0.5, v[33:34]
	v_add_f64_e32 v[33:34], v[33:34], v[45:46]
	v_fma_f64 v[63:64], v[63:64], -0.5, v[35:36]
	v_add_f64_e32 v[35:36], v[35:36], v[47:48]
	v_add_f64_e64 v[47:48], v[47:48], -v[51:52]
	s_delay_alu instid0(VALU_DEP_4) | instskip(NEXT) | instid1(VALU_DEP_3)
	v_add_f64_e32 v[33:34], v[33:34], v[49:50]
	v_add_f64_e32 v[35:36], v[35:36], v[51:52]
	v_add_f64_e64 v[51:52], v[45:46], -v[49:50]
	s_delay_alu instid0(VALU_DEP_4) | instskip(SKIP_2) | instid1(VALU_DEP_4)
	v_fma_f64 v[45:46], v[47:48], s[2:3], v[61:62]
	v_fma_f64 v[49:50], v[47:48], s[8:9], v[61:62]
	v_add_f64_e32 v[61:62], v[53:54], v[57:58]
	v_fma_f64 v[47:48], v[51:52], s[8:9], v[63:64]
	v_fma_f64 v[51:52], v[51:52], s[2:3], v[63:64]
	v_add_f64_e32 v[63:64], v[55:56], v[59:60]
	s_delay_alu instid0(VALU_DEP_4) | instskip(SKIP_2) | instid1(VALU_DEP_4)
	v_fma_f64 v[61:62], v[61:62], -0.5, v[5:6]
	v_add_f64_e32 v[4:5], v[5:6], v[53:54]
	v_add_f64_e64 v[53:54], v[53:54], -v[57:58]
	v_fma_f64 v[63:64], v[63:64], -0.5, v[7:8]
	v_add_f64_e32 v[7:8], v[7:8], v[55:56]
	v_add_f64_e64 v[55:56], v[55:56], -v[59:60]
	v_add_f64_e32 v[4:5], v[4:5], v[57:58]
	s_delay_alu instid0(VALU_DEP_4) | instskip(SKIP_1) | instid1(VALU_DEP_4)
	v_fma_f64 v[242:243], v[53:54], s[8:9], v[63:64]
	v_fma_f64 v[246:247], v[53:54], s[2:3], v[63:64]
	;; [unrolled: 1-line block ×4, first 2 shown]
	v_add_f64_e32 v[6:7], v[7:8], v[59:60]
	ds_store_b128 v181, v[9:12] offset:1456
	ds_store_b128 v181, v[29:32] offset:2912
	;; [unrolled: 1-line block ×6, first 2 shown]
	ds_store_b128 v180, v[0:3]
	ds_store_b128 v180, v[37:40] offset:10192
	ds_store_b128 v180, v[41:44] offset:17472
	;; [unrolled: 1-line block ×8, first 2 shown]
	global_wb scope:SCOPE_SE
	s_wait_storecnt_dscnt 0x0
	s_barrier_signal -1
	s_barrier_wait -1
	global_inv scope:SCOPE_SE
	scratch_load_b64 v[0:1], off, off       ; 8-byte Folded Reload
	s_add_nc_u64 s[2:3], s[12:13], 0x5550
	s_wait_loadcnt 0x0
	s_clause 0x1
	global_load_b128 v[2:5], v[0:1], off offset:21840
	global_load_b128 v[6:9], v152, s[2:3] offset:1680
	ds_load_b128 v[10:13], v180
	ds_load_b128 v[14:17], v180 offset:1680
	s_wait_loadcnt_dscnt 0x101
	v_mul_f64_e32 v[0:1], v[12:13], v[4:5]
	v_mul_f64_e32 v[4:5], v[10:11], v[4:5]
	s_delay_alu instid0(VALU_DEP_2) | instskip(NEXT) | instid1(VALU_DEP_2)
	v_fma_f64 v[0:1], v[10:11], v[2:3], -v[0:1]
	v_fma_f64 v[2:3], v[12:13], v[2:3], v[4:5]
	s_wait_loadcnt_dscnt 0x0
	v_mul_f64_e32 v[4:5], v[16:17], v[8:9]
	v_mul_f64_e32 v[8:9], v[14:15], v[8:9]
	s_delay_alu instid0(VALU_DEP_2) | instskip(NEXT) | instid1(VALU_DEP_2)
	v_fma_f64 v[4:5], v[14:15], v[6:7], -v[4:5]
	v_fma_f64 v[6:7], v[16:17], v[6:7], v[8:9]
	s_clause 0x1
	global_load_b128 v[8:11], v152, s[2:3] offset:3360
	global_load_b128 v[12:15], v152, s[2:3] offset:5040
	ds_load_b128 v[16:19], v180 offset:3360
	ds_load_b128 v[20:23], v180 offset:5040
	s_wait_loadcnt_dscnt 0x101
	v_mul_f64_e32 v[24:25], v[18:19], v[10:11]
	v_mul_f64_e32 v[10:11], v[16:17], v[10:11]
	s_delay_alu instid0(VALU_DEP_2) | instskip(NEXT) | instid1(VALU_DEP_2)
	v_fma_f64 v[16:17], v[16:17], v[8:9], -v[24:25]
	v_fma_f64 v[18:19], v[18:19], v[8:9], v[10:11]
	s_wait_loadcnt_dscnt 0x0
	v_mul_f64_e32 v[8:9], v[22:23], v[14:15]
	v_mul_f64_e32 v[10:11], v[20:21], v[14:15]
	s_delay_alu instid0(VALU_DEP_2) | instskip(NEXT) | instid1(VALU_DEP_2)
	v_fma_f64 v[8:9], v[20:21], v[12:13], -v[8:9]
	v_fma_f64 v[10:11], v[22:23], v[12:13], v[10:11]
	s_clause 0x1
	global_load_b128 v[12:15], v152, s[2:3] offset:6720
	global_load_b128 v[20:23], v152, s[2:3] offset:8400
	ds_load_b128 v[24:27], v180 offset:6720
	;; [unrolled: 17-line block ×5, first 2 shown]
	ds_load_b128 v[52:55], v180 offset:18480
	s_wait_loadcnt_dscnt 0x101
	v_mul_f64_e32 v[56:57], v[50:51], v[38:39]
	v_mul_f64_e32 v[38:39], v[48:49], v[38:39]
	s_delay_alu instid0(VALU_DEP_2) | instskip(NEXT) | instid1(VALU_DEP_2)
	v_fma_f64 v[48:49], v[48:49], v[36:37], -v[56:57]
	v_fma_f64 v[50:51], v[50:51], v[36:37], v[38:39]
	s_wait_loadcnt_dscnt 0x0
	v_mul_f64_e32 v[36:37], v[54:55], v[46:47]
	v_mul_f64_e32 v[38:39], v[52:53], v[46:47]
	s_delay_alu instid0(VALU_DEP_2) | instskip(NEXT) | instid1(VALU_DEP_2)
	v_fma_f64 v[36:37], v[52:53], v[44:45], -v[36:37]
	v_fma_f64 v[38:39], v[54:55], v[44:45], v[38:39]
	global_load_b128 v[44:47], v152, s[2:3] offset:20160
	ds_load_b128 v[52:55], v180 offset:20160
	s_wait_loadcnt_dscnt 0x0
	v_mul_f64_e32 v[56:57], v[54:55], v[46:47]
	v_mul_f64_e32 v[46:47], v[52:53], v[46:47]
	s_delay_alu instid0(VALU_DEP_2) | instskip(NEXT) | instid1(VALU_DEP_2)
	v_fma_f64 v[52:53], v[52:53], v[44:45], -v[56:57]
	v_fma_f64 v[54:55], v[54:55], v[44:45], v[46:47]
	ds_store_b128 v180, v[0:3]
	ds_store_b128 v180, v[4:7] offset:1680
	ds_store_b128 v180, v[16:19] offset:3360
	;; [unrolled: 1-line block ×12, first 2 shown]
	s_and_saveexec_b32 s1, vcc_lo
	s_cbranch_execz .LBB0_13
; %bb.12:
	s_wait_alu 0xfffe
	v_add_co_u32 v48, s2, s2, v152
	s_wait_alu 0xf1ff
	v_add_co_ci_u32_e64 v49, null, s3, 0, s2
	s_clause 0x8
	global_load_b128 v[0:3], v[48:49], off offset:1456
	global_load_b128 v[4:7], v[48:49], off offset:3136
	;; [unrolled: 1-line block ×9, first 2 shown]
	ds_load_b128 v[36:39], v181 offset:1456
	global_load_b128 v[40:43], v[48:49], off offset:16576
	s_wait_loadcnt_dscnt 0x900
	v_mul_f64_e32 v[44:45], v[38:39], v[2:3]
	v_mul_f64_e32 v[2:3], v[36:37], v[2:3]
	s_delay_alu instid0(VALU_DEP_2)
	v_fma_f64 v[36:37], v[36:37], v[0:1], -v[44:45]
	global_load_b128 v[44:47], v[48:49], off offset:18256
	v_fma_f64 v[38:39], v[38:39], v[0:1], v[2:3]
	s_clause 0x1
	global_load_b128 v[0:3], v[48:49], off offset:19936
	global_load_b128 v[48:51], v[48:49], off offset:21616
	ds_store_b128 v181, v[36:39] offset:1456
	ds_load_b128 v[36:39], v180 offset:3136
	ds_load_b128 v[52:55], v180 offset:4816
	s_wait_loadcnt_dscnt 0xb01
	v_mul_f64_e32 v[56:57], v[38:39], v[6:7]
	v_mul_f64_e32 v[6:7], v[36:37], v[6:7]
	s_wait_loadcnt_dscnt 0xa00
	v_mul_f64_e32 v[60:61], v[54:55], v[10:11]
	v_mul_f64_e32 v[10:11], v[52:53], v[10:11]
	s_delay_alu instid0(VALU_DEP_4) | instskip(NEXT) | instid1(VALU_DEP_4)
	v_fma_f64 v[36:37], v[36:37], v[4:5], -v[56:57]
	v_fma_f64 v[38:39], v[38:39], v[4:5], v[6:7]
	ds_load_b128 v[4:7], v180 offset:6496
	ds_load_b128 v[56:59], v180 offset:8176
	v_fma_f64 v[52:53], v[52:53], v[8:9], -v[60:61]
	v_fma_f64 v[54:55], v[54:55], v[8:9], v[10:11]
	s_wait_loadcnt_dscnt 0x901
	v_mul_f64_e32 v[8:9], v[6:7], v[14:15]
	v_mul_f64_e32 v[10:11], v[4:5], v[14:15]
	s_wait_loadcnt_dscnt 0x800
	v_mul_f64_e32 v[60:61], v[58:59], v[18:19]
	v_mul_f64_e32 v[18:19], v[56:57], v[18:19]
	s_delay_alu instid0(VALU_DEP_4) | instskip(NEXT) | instid1(VALU_DEP_4)
	v_fma_f64 v[4:5], v[4:5], v[12:13], -v[8:9]
	v_fma_f64 v[6:7], v[6:7], v[12:13], v[10:11]
	ds_load_b128 v[8:11], v180 offset:9856
	ds_load_b128 v[12:15], v180 offset:11536
	v_fma_f64 v[56:57], v[56:57], v[16:17], -v[60:61]
	v_fma_f64 v[58:59], v[58:59], v[16:17], v[18:19]
	;; [unrolled: 13-line block ×5, first 2 shown]
	s_wait_loadcnt_dscnt 0x101
	v_mul_f64_e32 v[44:45], v[34:35], v[2:3]
	v_mul_f64_e32 v[2:3], v[32:33], v[2:3]
	s_wait_loadcnt_dscnt 0x0
	v_mul_f64_e32 v[46:47], v[42:43], v[50:51]
	v_mul_f64_e32 v[50:51], v[40:41], v[50:51]
	s_delay_alu instid0(VALU_DEP_4) | instskip(NEXT) | instid1(VALU_DEP_4)
	v_fma_f64 v[32:33], v[32:33], v[0:1], -v[44:45]
	v_fma_f64 v[34:35], v[34:35], v[0:1], v[2:3]
	s_delay_alu instid0(VALU_DEP_4) | instskip(NEXT) | instid1(VALU_DEP_4)
	v_fma_f64 v[0:1], v[40:41], v[48:49], -v[46:47]
	v_fma_f64 v[2:3], v[42:43], v[48:49], v[50:51]
	ds_store_b128 v180, v[36:39] offset:3136
	ds_store_b128 v180, v[52:55] offset:4816
	;; [unrolled: 1-line block ×12, first 2 shown]
.LBB0_13:
	s_wait_alu 0xfffe
	s_or_b32 exec_lo, exec_lo, s1
	global_wb scope:SCOPE_SE
	s_wait_dscnt 0x0
	s_barrier_signal -1
	s_barrier_wait -1
	global_inv scope:SCOPE_SE
	ds_load_b128 v[4:7], v180
	ds_load_b128 v[0:3], v180 offset:1680
	ds_load_b128 v[8:11], v180 offset:3360
	;; [unrolled: 1-line block ×12, first 2 shown]
	s_and_saveexec_b32 s1, vcc_lo
	s_cbranch_execz .LBB0_15
; %bb.14:
	ds_load_b128 v[240:243], v181 offset:1456
	ds_load_b128 v[244:247], v181 offset:3136
	;; [unrolled: 1-line block ×13, first 2 shown]
.LBB0_15:
	s_wait_alu 0xfffe
	s_or_b32 exec_lo, exec_lo, s1
	s_wait_dscnt 0xb
	v_add_f64_e32 v[44:45], v[4:5], v[0:1]
	v_add_f64_e32 v[46:47], v[6:7], v[2:3]
	s_wait_dscnt 0x4
	v_add_f64_e32 v[56:57], v[36:37], v[40:41]
	v_add_f64_e32 v[58:59], v[38:39], v[42:43]
	s_wait_dscnt 0x3
	v_add_f64_e64 v[60:61], v[28:29], -v[32:33]
	v_add_f64_e64 v[62:63], v[30:31], -v[34:35]
	s_wait_dscnt 0x2
	v_add_f64_e32 v[64:65], v[16:17], v[24:25]
	v_add_f64_e64 v[66:67], v[16:17], -v[24:25]
	s_wait_dscnt 0x1
	v_add_f64_e32 v[68:69], v[8:9], v[20:21]
	v_add_f64_e64 v[70:71], v[8:9], -v[20:21]
	s_mov_b32 s36, 0x4267c47c
	s_mov_b32 s28, 0x42a4c3d2
	;; [unrolled: 1-line block ×28, first 2 shown]
	v_add_f64_e32 v[44:45], v[44:45], v[8:9]
	v_add_f64_e32 v[46:47], v[46:47], v[10:11]
	s_wait_alu 0xfffe
	s_mov_b32 s38, s36
	s_mov_b32 s34, s28
	;; [unrolled: 1-line block ×8, first 2 shown]
	v_mul_f64_e32 v[132:133], s[20:21], v[62:63]
	v_add_f64_e64 v[54:55], v[254:255], -v[250:251]
	v_mul_f64_e32 v[138:139], s[8:9], v[58:59]
	v_add_f64_e32 v[50:51], v[254:255], v[250:251]
	v_add_f64_e64 v[52:53], v[252:253], -v[248:249]
	v_mul_f64_e32 v[146:147], s[14:15], v[58:59]
	global_wb scope:SCOPE_SE
	s_wait_dscnt 0x0
	s_barrier_signal -1
	s_barrier_wait -1
	global_inv scope:SCOPE_SE
	v_add_f64_e64 v[182:183], v[170:171], -v[226:227]
	v_add_f64_e64 v[184:185], v[168:169], -v[224:225]
	;; [unrolled: 1-line block ×8, first 2 shown]
	v_add_f64_e32 v[44:45], v[44:45], v[16:17]
	v_add_f64_e32 v[46:47], v[46:47], v[18:19]
	v_mul_f64_e32 v[140:141], s[26:27], v[54:55]
	s_wait_alu 0xfffe
	v_mul_f64_e32 v[148:149], s[38:39], v[54:55]
	v_mul_f64_e32 v[142:143], s[2:3], v[50:51]
	v_add_f64_e32 v[44:45], v[44:45], v[28:29]
	v_add_f64_e32 v[46:47], v[46:47], v[30:31]
	s_delay_alu instid0(VALU_DEP_2) | instskip(NEXT) | instid1(VALU_DEP_2)
	v_add_f64_e32 v[44:45], v[44:45], v[36:37]
	v_add_f64_e32 v[48:49], v[46:47], v[38:39]
	v_add_f64_e64 v[36:37], v[36:37], -v[40:41]
	v_add_f64_e64 v[38:39], v[38:39], -v[42:43]
	s_delay_alu instid0(VALU_DEP_4) | instskip(NEXT) | instid1(VALU_DEP_4)
	v_add_f64_e32 v[46:47], v[44:45], v[252:253]
	v_add_f64_e32 v[48:49], v[48:49], v[254:255]
	v_add_f64_e32 v[44:45], v[252:253], v[248:249]
	s_delay_alu instid0(VALU_DEP_4) | instskip(SKIP_3) | instid1(VALU_DEP_2)
	v_mul_f64_e32 v[136:137], s[22:23], v[38:39]
	v_mul_f64_e32 v[144:145], s[30:31], v[38:39]
	v_add_f64_e32 v[46:47], v[46:47], v[248:249]
	v_add_f64_e32 v[48:49], v[48:49], v[250:251]
	v_add_f64_e32 v[40:41], v[46:47], v[40:41]
	s_delay_alu instid0(VALU_DEP_2) | instskip(SKIP_2) | instid1(VALU_DEP_4)
	v_add_f64_e32 v[42:43], v[48:49], v[42:43]
	v_add_f64_e32 v[46:47], v[28:29], v[32:33]
	;; [unrolled: 1-line block ×4, first 2 shown]
	s_delay_alu instid0(VALU_DEP_4)
	v_add_f64_e32 v[30:31], v[42:43], v[34:35]
	v_add_f64_e32 v[32:33], v[18:19], v[26:27]
	v_add_f64_e64 v[34:35], v[18:19], -v[26:27]
	v_add_f64_e32 v[40:41], v[10:11], v[22:23]
	v_add_f64_e64 v[42:43], v[10:11], -v[22:23]
	v_mul_f64_e32 v[134:135], s[12:13], v[48:49]
	v_add_f64_e32 v[16:17], v[28:29], v[24:25]
	v_add_f64_e32 v[18:19], v[30:31], v[26:27]
	v_mul_f64_e32 v[130:131], s[14:15], v[32:33]
	v_mul_f64_e32 v[128:129], s[24:25], v[34:35]
	;; [unrolled: 1-line block ×4, first 2 shown]
	v_add_f64_e32 v[8:9], v[16:17], v[20:21]
	v_add_f64_e32 v[10:11], v[18:19], v[22:23]
	v_add_f64_e64 v[16:17], v[2:3], -v[14:15]
	v_add_f64_e32 v[18:19], v[0:1], v[12:13]
	v_add_f64_e32 v[20:21], v[2:3], v[14:15]
	v_add_f64_e64 v[22:23], v[0:1], -v[12:13]
	v_add_f64_e32 v[0:1], v[8:9], v[12:13]
	v_add_f64_e32 v[2:3], v[10:11], v[14:15]
	v_mul_f64_e32 v[8:9], s[36:37], v[16:17]
	v_mul_f64_e32 v[10:11], s[28:29], v[16:17]
	;; [unrolled: 1-line block ×10, first 2 shown]
	v_fma_f64 v[26:27], v[18:19], s[18:19], v[8:9]
	v_fma_f64 v[8:9], v[18:19], s[18:19], -v[8:9]
	v_fma_f64 v[28:29], v[18:19], s[16:17], v[10:11]
	v_fma_f64 v[10:11], v[18:19], s[16:17], -v[10:11]
	;; [unrolled: 2-line block ×6, first 2 shown]
	v_mul_f64_e32 v[18:19], s[18:19], v[20:21]
	v_mul_f64_e32 v[20:21], s[2:3], v[20:21]
	v_fma_f64 v[89:90], v[22:23], s[34:35], v[79:80]
	v_fma_f64 v[79:80], v[22:23], s[28:29], v[79:80]
	;; [unrolled: 1-line block ×8, first 2 shown]
	v_add_f64_e32 v[10:11], v[4:5], v[10:11]
	v_add_f64_e32 v[30:31], v[4:5], v[30:31]
	;; [unrolled: 1-line block ×7, first 2 shown]
	v_fma_f64 v[87:88], v[22:23], s[38:39], v[18:19]
	v_fma_f64 v[18:19], v[22:23], s[36:37], v[18:19]
	v_fma_f64 v[97:98], v[22:23], s[44:45], v[20:21]
	v_fma_f64 v[20:21], v[22:23], s[26:27], v[20:21]
	v_add_f64_e32 v[22:23], v[4:5], v[26:27]
	v_mul_f64_e32 v[16:17], s[20:21], v[42:43]
	v_add_f64_e32 v[81:82], v[6:7], v[81:82]
	v_add_f64_e32 v[83:84], v[6:7], v[83:84]
	;; [unrolled: 1-line block ×4, first 2 shown]
	v_mul_f64_e32 v[24:25], s[42:43], v[62:63]
	v_add_f64_e32 v[26:27], v[6:7], v[87:88]
	v_add_f64_e32 v[87:88], v[4:5], v[8:9]
	;; [unrolled: 1-line block ×10, first 2 shown]
	v_fma_f64 v[4:5], v[68:69], s[16:17], v[124:125]
	v_add_f64_e32 v[97:98], v[6:7], v[97:98]
	v_add_f64_e32 v[122:123], v[6:7], v[20:21]
	v_fma_f64 v[6:7], v[70:71], s[34:35], v[126:127]
	v_fma_f64 v[12:13], v[64:65], s[14:15], v[128:129]
	v_mul_f64_e32 v[20:21], s[12:13], v[40:41]
	v_add_f64_e32 v[4:5], v[4:5], v[22:23]
	v_mul_f64_e32 v[22:23], s[2:3], v[32:33]
	v_add_f64_e32 v[6:7], v[6:7], v[26:27]
	v_mul_f64_e32 v[26:27], s[8:9], v[48:49]
	s_delay_alu instid0(VALU_DEP_4) | instskip(SKIP_1) | instid1(VALU_DEP_1)
	v_add_f64_e32 v[4:5], v[12:13], v[4:5]
	v_fma_f64 v[12:13], v[66:67], s[30:31], v[130:131]
	v_add_f64_e32 v[6:7], v[12:13], v[6:7]
	v_fma_f64 v[12:13], v[46:47], s[12:13], v[132:133]
	s_delay_alu instid0(VALU_DEP_1) | instskip(SKIP_1) | instid1(VALU_DEP_1)
	v_add_f64_e32 v[4:5], v[12:13], v[4:5]
	v_fma_f64 v[12:13], v[60:61], s[40:41], v[134:135]
	v_add_f64_e32 v[6:7], v[12:13], v[6:7]
	v_fma_f64 v[12:13], v[56:57], s[8:9], v[136:137]
	s_delay_alu instid0(VALU_DEP_1) | instskip(SKIP_1) | instid1(VALU_DEP_1)
	;; [unrolled: 5-line block ×3, first 2 shown]
	v_add_f64_e32 v[4:5], v[12:13], v[4:5]
	v_fma_f64 v[12:13], v[52:53], s[44:45], v[142:143]
	v_add_f64_e32 v[6:7], v[12:13], v[6:7]
	v_fma_f64 v[12:13], v[68:69], s[12:13], v[16:17]
	v_fma_f64 v[16:17], v[68:69], s[12:13], -v[16:17]
	s_delay_alu instid0(VALU_DEP_2) | instskip(SKIP_1) | instid1(VALU_DEP_3)
	v_add_f64_e32 v[8:9], v[12:13], v[8:9]
	v_fma_f64 v[12:13], v[70:71], s[40:41], v[20:21]
	v_add_f64_e32 v[10:11], v[16:17], v[10:11]
	v_fma_f64 v[16:17], v[70:71], s[20:21], v[20:21]
	s_delay_alu instid0(VALU_DEP_3) | instskip(SKIP_1) | instid1(VALU_DEP_3)
	v_add_f64_e32 v[12:13], v[12:13], v[18:19]
	v_mul_f64_e32 v[18:19], s[26:27], v[34:35]
	v_add_f64_e32 v[16:17], v[16:17], v[28:29]
	s_delay_alu instid0(VALU_DEP_2) | instskip(SKIP_1) | instid1(VALU_DEP_2)
	v_fma_f64 v[14:15], v[64:65], s[2:3], v[18:19]
	v_fma_f64 v[18:19], v[64:65], s[2:3], -v[18:19]
	v_add_f64_e32 v[8:9], v[14:15], v[8:9]
	v_fma_f64 v[14:15], v[66:67], s[44:45], v[22:23]
	s_delay_alu instid0(VALU_DEP_3) | instskip(SKIP_1) | instid1(VALU_DEP_3)
	v_add_f64_e32 v[10:11], v[18:19], v[10:11]
	v_fma_f64 v[18:19], v[66:67], s[26:27], v[22:23]
	v_add_f64_e32 v[12:13], v[14:15], v[12:13]
	v_fma_f64 v[14:15], v[46:47], s[8:9], v[24:25]
	s_delay_alu instid0(VALU_DEP_3) | instskip(SKIP_2) | instid1(VALU_DEP_4)
	v_add_f64_e32 v[16:17], v[18:19], v[16:17]
	v_fma_f64 v[18:19], v[46:47], s[8:9], -v[24:25]
	v_mul_f64_e32 v[24:25], s[40:41], v[34:35]
	v_add_f64_e32 v[8:9], v[14:15], v[8:9]
	v_fma_f64 v[14:15], v[60:61], s[22:23], v[26:27]
	s_delay_alu instid0(VALU_DEP_4) | instskip(SKIP_2) | instid1(VALU_DEP_4)
	v_add_f64_e32 v[10:11], v[18:19], v[10:11]
	v_fma_f64 v[18:19], v[60:61], s[42:43], v[26:27]
	v_fma_f64 v[26:27], v[64:65], s[12:13], v[24:25]
	v_add_f64_e32 v[12:13], v[14:15], v[12:13]
	v_fma_f64 v[14:15], v[56:57], s[14:15], v[144:145]
	s_delay_alu instid0(VALU_DEP_4) | instskip(SKIP_1) | instid1(VALU_DEP_3)
	v_add_f64_e32 v[16:17], v[18:19], v[16:17]
	v_fma_f64 v[18:19], v[56:57], s[14:15], -v[144:145]
	v_add_f64_e32 v[8:9], v[14:15], v[8:9]
	v_fma_f64 v[14:15], v[36:37], s[24:25], v[146:147]
	s_delay_alu instid0(VALU_DEP_3) | instskip(SKIP_1) | instid1(VALU_DEP_3)
	v_add_f64_e32 v[10:11], v[18:19], v[10:11]
	v_fma_f64 v[18:19], v[36:37], s[30:31], v[146:147]
	v_add_f64_e32 v[14:15], v[14:15], v[12:13]
	v_fma_f64 v[12:13], v[44:45], s[18:19], v[148:149]
	s_delay_alu instid0(VALU_DEP_3) | instskip(SKIP_1) | instid1(VALU_DEP_3)
	v_add_f64_e32 v[16:17], v[18:19], v[16:17]
	v_fma_f64 v[18:19], v[44:45], s[18:19], -v[148:149]
	v_add_f64_e32 v[12:13], v[12:13], v[8:9]
	v_mul_f64_e32 v[8:9], s[18:19], v[50:51]
	s_delay_alu instid0(VALU_DEP_1) | instskip(SKIP_2) | instid1(VALU_DEP_3)
	v_fma_f64 v[20:21], v[52:53], s[38:39], v[8:9]
	v_fma_f64 v[150:151], v[52:53], s[36:37], v[8:9]
	v_add_f64_e32 v[8:9], v[18:19], v[10:11]
	v_add_f64_e32 v[10:11], v[20:21], v[16:17]
	v_mul_f64_e32 v[16:17], s[26:27], v[42:43]
	v_mul_f64_e32 v[20:21], s[2:3], v[40:41]
	v_add_f64_e32 v[14:15], v[150:151], v[14:15]
	s_delay_alu instid0(VALU_DEP_3) | instskip(NEXT) | instid1(VALU_DEP_3)
	v_fma_f64 v[18:19], v[68:69], s[2:3], v[16:17]
	v_fma_f64 v[22:23], v[70:71], s[44:45], v[20:21]
	v_fma_f64 v[16:17], v[68:69], s[2:3], -v[16:17]
	v_fma_f64 v[20:21], v[70:71], s[26:27], v[20:21]
	s_delay_alu instid0(VALU_DEP_4) | instskip(NEXT) | instid1(VALU_DEP_4)
	v_add_f64_e32 v[18:19], v[18:19], v[30:31]
	v_add_f64_e32 v[22:23], v[22:23], v[79:80]
	s_delay_alu instid0(VALU_DEP_4) | instskip(NEXT) | instid1(VALU_DEP_4)
	v_add_f64_e32 v[16:17], v[16:17], v[89:90]
	v_add_f64_e32 v[20:21], v[20:21], v[81:82]
	s_delay_alu instid0(VALU_DEP_4) | instskip(SKIP_1) | instid1(VALU_DEP_1)
	v_add_f64_e32 v[18:19], v[26:27], v[18:19]
	v_mul_f64_e32 v[26:27], s[12:13], v[32:33]
	v_fma_f64 v[28:29], v[66:67], s[20:21], v[26:27]
	s_delay_alu instid0(VALU_DEP_1) | instskip(SKIP_1) | instid1(VALU_DEP_1)
	v_add_f64_e32 v[22:23], v[28:29], v[22:23]
	v_mul_f64_e32 v[28:29], s[38:39], v[62:63]
	v_fma_f64 v[30:31], v[46:47], s[18:19], v[28:29]
	s_delay_alu instid0(VALU_DEP_1) | instskip(SKIP_1) | instid1(VALU_DEP_1)
	;; [unrolled: 4-line block ×6, first 2 shown]
	v_add_f64_e32 v[248:249], v[148:149], v[18:19]
	v_mul_f64_e32 v[18:19], s[8:9], v[50:51]
	v_fma_f64 v[148:149], v[52:53], s[42:43], v[18:19]
	v_fma_f64 v[18:19], v[52:53], s[22:23], v[18:19]
	s_delay_alu instid0(VALU_DEP_2) | instskip(SKIP_3) | instid1(VALU_DEP_3)
	v_add_f64_e32 v[250:251], v[148:149], v[22:23]
	v_fma_f64 v[22:23], v[64:65], s[12:13], -v[24:25]
	v_mul_f64_e32 v[24:25], s[42:43], v[42:43]
	v_mul_f64_e32 v[148:149], s[44:45], v[192:193]
	v_add_f64_e32 v[16:17], v[22:23], v[16:17]
	v_fma_f64 v[22:23], v[66:67], s[40:41], v[26:27]
	v_mul_f64_e32 v[26:27], s[8:9], v[40:41]
	s_delay_alu instid0(VALU_DEP_2) | instskip(SKIP_2) | instid1(VALU_DEP_2)
	v_add_f64_e32 v[20:21], v[22:23], v[20:21]
	v_fma_f64 v[22:23], v[46:47], s[18:19], -v[28:29]
	v_mul_f64_e32 v[28:29], s[38:39], v[34:35]
	v_add_f64_e32 v[16:17], v[22:23], v[16:17]
	v_fma_f64 v[22:23], v[60:61], s[38:39], v[30:31]
	s_delay_alu instid0(VALU_DEP_3) | instskip(SKIP_1) | instid1(VALU_DEP_3)
	v_fma_f64 v[30:31], v[64:65], s[18:19], v[28:29]
	v_fma_f64 v[28:29], v[64:65], s[18:19], -v[28:29]
	v_add_f64_e32 v[20:21], v[22:23], v[20:21]
	v_fma_f64 v[22:23], v[56:57], s[16:17], -v[79:80]
	s_delay_alu instid0(VALU_DEP_1) | instskip(SKIP_1) | instid1(VALU_DEP_1)
	v_add_f64_e32 v[16:17], v[22:23], v[16:17]
	v_fma_f64 v[22:23], v[36:37], s[28:29], v[144:145]
	v_add_f64_e32 v[20:21], v[22:23], v[20:21]
	v_fma_f64 v[22:23], v[44:45], s[8:9], -v[146:147]
	s_delay_alu instid0(VALU_DEP_2) | instskip(SKIP_1) | instid1(VALU_DEP_3)
	v_add_f64_e32 v[18:19], v[18:19], v[20:21]
	v_fma_f64 v[20:21], v[68:69], s[8:9], v[24:25]
	v_add_f64_e32 v[16:17], v[22:23], v[16:17]
	v_fma_f64 v[22:23], v[70:71], s[22:23], v[26:27]
	v_fma_f64 v[24:25], v[68:69], s[8:9], -v[24:25]
	v_fma_f64 v[26:27], v[70:71], s[42:43], v[26:27]
	v_add_f64_e32 v[20:21], v[20:21], v[72:73]
	s_delay_alu instid0(VALU_DEP_4) | instskip(NEXT) | instid1(VALU_DEP_4)
	v_add_f64_e32 v[22:23], v[22:23], v[91:92]
	v_add_f64_e32 v[24:25], v[24:25], v[93:94]
	s_delay_alu instid0(VALU_DEP_4) | instskip(NEXT) | instid1(VALU_DEP_4)
	v_add_f64_e32 v[26:27], v[26:27], v[83:84]
	v_add_f64_e32 v[20:21], v[30:31], v[20:21]
	v_mul_f64_e32 v[30:31], s[18:19], v[32:33]
	s_delay_alu instid0(VALU_DEP_4) | instskip(NEXT) | instid1(VALU_DEP_2)
	v_add_f64_e32 v[24:25], v[28:29], v[24:25]
	v_fma_f64 v[72:73], v[66:67], s[36:37], v[30:31]
	v_fma_f64 v[28:29], v[66:67], s[38:39], v[30:31]
	s_delay_alu instid0(VALU_DEP_2) | instskip(SKIP_1) | instid1(VALU_DEP_3)
	v_add_f64_e32 v[22:23], v[72:73], v[22:23]
	v_mul_f64_e32 v[72:73], s[24:25], v[62:63]
	v_add_f64_e32 v[26:27], v[28:29], v[26:27]
	s_delay_alu instid0(VALU_DEP_2) | instskip(SKIP_2) | instid1(VALU_DEP_3)
	v_fma_f64 v[79:80], v[46:47], s[14:15], v[72:73]
	v_fma_f64 v[28:29], v[46:47], s[14:15], -v[72:73]
	v_mul_f64_e32 v[72:73], s[28:29], v[34:35]
	v_add_f64_e32 v[20:21], v[79:80], v[20:21]
	v_mul_f64_e32 v[79:80], s[14:15], v[48:49]
	s_delay_alu instid0(VALU_DEP_4) | instskip(NEXT) | instid1(VALU_DEP_2)
	v_add_f64_e32 v[24:25], v[28:29], v[24:25]
	v_fma_f64 v[81:82], v[60:61], s[30:31], v[79:80]
	v_fma_f64 v[28:29], v[60:61], s[24:25], v[79:80]
	s_delay_alu instid0(VALU_DEP_2) | instskip(SKIP_1) | instid1(VALU_DEP_3)
	v_add_f64_e32 v[22:23], v[81:82], v[22:23]
	v_mul_f64_e32 v[81:82], s[44:45], v[38:39]
	v_add_f64_e32 v[26:27], v[28:29], v[26:27]
	s_delay_alu instid0(VALU_DEP_2) | instskip(SKIP_1) | instid1(VALU_DEP_2)
	v_fma_f64 v[89:90], v[56:57], s[2:3], v[81:82]
	v_fma_f64 v[28:29], v[56:57], s[2:3], -v[81:82]
	v_add_f64_e32 v[20:21], v[89:90], v[20:21]
	v_mul_f64_e32 v[89:90], s[2:3], v[58:59]
	s_delay_alu instid0(VALU_DEP_3) | instskip(NEXT) | instid1(VALU_DEP_2)
	v_add_f64_e32 v[24:25], v[28:29], v[24:25]
	v_fma_f64 v[91:92], v[36:37], s[26:27], v[89:90]
	v_fma_f64 v[28:29], v[36:37], s[44:45], v[89:90]
	s_delay_alu instid0(VALU_DEP_2) | instskip(SKIP_1) | instid1(VALU_DEP_3)
	v_add_f64_e32 v[22:23], v[91:92], v[22:23]
	v_mul_f64_e32 v[91:92], s[34:35], v[54:55]
	v_add_f64_e32 v[26:27], v[28:29], v[26:27]
	s_delay_alu instid0(VALU_DEP_2) | instskip(SKIP_1) | instid1(VALU_DEP_2)
	v_fma_f64 v[144:145], v[44:45], s[16:17], v[91:92]
	v_fma_f64 v[28:29], v[44:45], s[16:17], -v[91:92]
	v_add_f64_e32 v[20:21], v[144:145], v[20:21]
	v_mul_f64_e32 v[144:145], s[16:17], v[50:51]
	s_delay_alu instid0(VALU_DEP_3) | instskip(SKIP_2) | instid1(VALU_DEP_4)
	v_add_f64_e32 v[252:253], v[28:29], v[24:25]
	v_mul_f64_e32 v[28:29], s[30:31], v[42:43]
	v_mul_f64_e32 v[42:43], s[38:39], v[42:43]
	v_fma_f64 v[30:31], v[52:53], s[34:35], v[144:145]
	v_fma_f64 v[146:147], v[52:53], s[28:29], v[144:145]
	s_delay_alu instid0(VALU_DEP_4)
	v_fma_f64 v[24:25], v[68:69], s[14:15], v[28:29]
	v_fma_f64 v[28:29], v[68:69], s[14:15], -v[28:29]
	v_mul_f64_e32 v[144:145], s[24:25], v[188:189]
	v_add_f64_e32 v[254:255], v[30:31], v[26:27]
	v_mul_f64_e32 v[30:31], s[14:15], v[40:41]
	v_add_f64_e32 v[24:25], v[24:25], v[74:75]
	v_fma_f64 v[74:75], v[64:65], s[16:17], v[72:73]
	v_add_f64_e32 v[28:29], v[28:29], v[118:119]
	v_fma_f64 v[72:73], v[64:65], s[16:17], -v[72:73]
	v_mul_f64_e32 v[40:41], s[18:19], v[40:41]
	v_add_f64_e32 v[22:23], v[146:147], v[22:23]
	v_mul_f64_e32 v[118:119], s[40:41], v[184:185]
	v_mul_f64_e32 v[146:147], s[34:35], v[196:197]
	v_fma_f64 v[26:27], v[70:71], s[24:25], v[30:31]
	v_fma_f64 v[30:31], v[70:71], s[30:31], v[30:31]
	v_add_f64_e32 v[24:25], v[74:75], v[24:25]
	v_mul_f64_e32 v[74:75], s[16:17], v[32:33]
	v_add_f64_e32 v[28:29], v[72:73], v[28:29]
	v_add_f64_e32 v[26:27], v[26:27], v[95:96]
	;; [unrolled: 1-line block ×3, first 2 shown]
	s_delay_alu instid0(VALU_DEP_4) | instskip(SKIP_1) | instid1(VALU_DEP_2)
	v_fma_f64 v[79:80], v[66:67], s[34:35], v[74:75]
	v_fma_f64 v[72:73], v[66:67], s[28:29], v[74:75]
	v_add_f64_e32 v[26:27], v[79:80], v[26:27]
	v_mul_f64_e32 v[79:80], s[44:45], v[62:63]
	s_delay_alu instid0(VALU_DEP_3) | instskip(SKIP_1) | instid1(VALU_DEP_3)
	v_add_f64_e32 v[30:31], v[72:73], v[30:31]
	v_mul_f64_e32 v[62:63], s[34:35], v[62:63]
	v_fma_f64 v[81:82], v[46:47], s[2:3], v[79:80]
	v_fma_f64 v[72:73], v[46:47], s[2:3], -v[79:80]
	s_delay_alu instid0(VALU_DEP_2) | instskip(SKIP_1) | instid1(VALU_DEP_3)
	v_add_f64_e32 v[24:25], v[81:82], v[24:25]
	v_mul_f64_e32 v[81:82], s[2:3], v[48:49]
	v_add_f64_e32 v[28:29], v[72:73], v[28:29]
	v_mul_f64_e32 v[48:49], s[16:17], v[48:49]
	s_delay_alu instid0(VALU_DEP_3) | instskip(SKIP_2) | instid1(VALU_DEP_3)
	v_fma_f64 v[83:84], v[60:61], s[26:27], v[81:82]
	v_fma_f64 v[72:73], v[60:61], s[44:45], v[81:82]
	v_mul_f64_e32 v[80:81], s[30:31], v[192:193]
	v_add_f64_e32 v[26:27], v[83:84], v[26:27]
	v_mul_f64_e32 v[83:84], s[38:39], v[38:39]
	s_delay_alu instid0(VALU_DEP_4) | instskip(SKIP_1) | instid1(VALU_DEP_3)
	v_add_f64_e32 v[30:31], v[72:73], v[30:31]
	v_mul_f64_e32 v[38:39], s[20:21], v[38:39]
	v_fma_f64 v[89:90], v[56:57], s[18:19], v[83:84]
	v_fma_f64 v[72:73], v[56:57], s[18:19], -v[83:84]
	v_add_f64_e32 v[84:85], v[244:245], v[228:229]
	s_delay_alu instid0(VALU_DEP_3) | instskip(SKIP_1) | instid1(VALU_DEP_4)
	v_add_f64_e32 v[24:25], v[89:90], v[24:25]
	v_mul_f64_e32 v[89:90], s[18:19], v[58:59]
	v_add_f64_e32 v[28:29], v[72:73], v[28:29]
	v_mul_f64_e32 v[58:59], s[12:13], v[58:59]
	s_delay_alu instid0(VALU_DEP_3) | instskip(SKIP_1) | instid1(VALU_DEP_2)
	v_fma_f64 v[91:92], v[36:37], s[36:37], v[89:90]
	v_fma_f64 v[72:73], v[36:37], s[38:39], v[89:90]
	v_add_f64_e32 v[26:27], v[91:92], v[26:27]
	v_mul_f64_e32 v[91:92], s[20:21], v[54:55]
	s_delay_alu instid0(VALU_DEP_3) | instskip(SKIP_1) | instid1(VALU_DEP_3)
	v_add_f64_e32 v[30:31], v[72:73], v[30:31]
	v_mul_f64_e32 v[54:55], s[30:31], v[54:55]
	v_fma_f64 v[72:73], v[44:45], s[12:13], -v[91:92]
	v_fma_f64 v[93:94], v[44:45], s[12:13], v[91:92]
	s_delay_alu instid0(VALU_DEP_2) | instskip(SKIP_1) | instid1(VALU_DEP_3)
	v_add_f64_e32 v[28:29], v[72:73], v[28:29]
	v_fma_f64 v[72:73], v[68:69], s[18:19], v[42:43]
	v_add_f64_e32 v[24:25], v[93:94], v[24:25]
	v_mul_f64_e32 v[93:94], s[12:13], v[50:51]
	v_mul_f64_e32 v[50:51], s[14:15], v[50:51]
	v_fma_f64 v[42:43], v[68:69], s[18:19], -v[42:43]
	v_add_f64_e32 v[72:73], v[72:73], v[77:78]
	v_mul_f64_e32 v[77:78], s[22:23], v[34:35]
	v_fma_f64 v[74:75], v[52:53], s[20:21], v[93:94]
	v_fma_f64 v[95:96], v[52:53], s[40:41], v[93:94]
	v_add_f64_e32 v[42:43], v[42:43], v[120:121]
	v_mul_f64_e32 v[92:93], s[40:41], v[182:183]
	v_mul_f64_e32 v[120:121], s[38:39], v[188:189]
	v_fma_f64 v[34:35], v[64:65], s[8:9], v[77:78]
	v_add_f64_e32 v[30:31], v[74:75], v[30:31]
	v_fma_f64 v[74:75], v[70:71], s[36:37], v[40:41]
	v_fma_f64 v[40:41], v[70:71], s[38:39], v[40:41]
	v_add_f64_e32 v[26:27], v[95:96], v[26:27]
	v_mul_f64_e32 v[94:95], s[22:23], v[194:195]
	v_add_f64_e32 v[34:35], v[34:35], v[72:73]
	v_mul_f64_e32 v[72:73], s[8:9], v[32:33]
	v_add_f64_e32 v[74:75], v[74:75], v[97:98]
	v_add_f64_e32 v[40:41], v[40:41], v[122:123]
	v_mul_f64_e32 v[96:97], s[38:39], v[186:187]
	v_mul_f64_e32 v[98:99], s[28:29], v[190:191]
	;; [unrolled: 1-line block ×3, first 2 shown]
	v_fma_f64 v[32:33], v[66:67], s[42:43], v[72:73]
	v_fma_f64 v[72:73], v[66:67], s[22:23], v[72:73]
	s_delay_alu instid0(VALU_DEP_2) | instskip(SKIP_2) | instid1(VALU_DEP_4)
	v_add_f64_e32 v[32:33], v[32:33], v[74:75]
	v_fma_f64 v[74:75], v[46:47], s[16:17], v[62:63]
	v_fma_f64 v[62:63], v[46:47], s[16:17], -v[62:63]
	v_add_f64_e32 v[40:41], v[72:73], v[40:41]
	v_fma_f64 v[46:47], v[46:47], s[12:13], -v[132:133]
	v_mul_f64_e32 v[132:133], s[38:39], v[182:183]
	v_add_f64_e32 v[34:35], v[74:75], v[34:35]
	v_fma_f64 v[74:75], v[60:61], s[28:29], v[48:49]
	v_fma_f64 v[48:49], v[60:61], s[34:35], v[48:49]
	s_delay_alu instid0(VALU_DEP_2) | instskip(SKIP_2) | instid1(VALU_DEP_4)
	v_add_f64_e32 v[32:33], v[74:75], v[32:33]
	v_fma_f64 v[74:75], v[56:57], s[12:13], v[38:39]
	v_fma_f64 v[38:39], v[56:57], s[12:13], -v[38:39]
	v_add_f64_e32 v[40:41], v[48:49], v[40:41]
	v_fma_f64 v[48:49], v[52:53], s[30:31], v[50:51]
	s_delay_alu instid0(VALU_DEP_4) | instskip(SKIP_1) | instid1(VALU_DEP_1)
	v_add_f64_e32 v[34:35], v[74:75], v[34:35]
	v_fma_f64 v[74:75], v[36:37], s[40:41], v[58:59]
	v_add_f64_e32 v[74:75], v[74:75], v[32:33]
	v_fma_f64 v[32:33], v[44:45], s[14:15], v[54:55]
	s_delay_alu instid0(VALU_DEP_1) | instskip(SKIP_2) | instid1(VALU_DEP_2)
	v_add_f64_e32 v[32:33], v[32:33], v[34:35]
	v_fma_f64 v[34:35], v[52:53], s[24:25], v[50:51]
	v_fma_f64 v[50:51], v[64:65], s[14:15], -v[128:129]
	v_add_f64_e32 v[34:35], v[34:35], v[74:75]
	v_fma_f64 v[74:75], v[64:65], s[8:9], -v[77:78]
	v_mul_f64_e32 v[78:79], s[38:39], v[196:197]
	s_delay_alu instid0(VALU_DEP_2) | instskip(SKIP_1) | instid1(VALU_DEP_2)
	v_add_f64_e32 v[42:43], v[74:75], v[42:43]
	v_mul_f64_e32 v[74:75], s[26:27], v[184:185]
	v_add_f64_e32 v[42:43], v[62:63], v[42:43]
	v_dual_mov_b32 v62, v172 :: v_dual_mov_b32 v63, v173
	v_dual_mov_b32 v64, v174 :: v_dual_mov_b32 v65, v175
	s_delay_alu instid0(VALU_DEP_3) | instskip(SKIP_3) | instid1(VALU_DEP_3)
	v_add_f64_e32 v[38:39], v[38:39], v[42:43]
	v_fma_f64 v[42:43], v[36:37], s[20:21], v[58:59]
	v_fma_f64 v[36:37], v[36:37], s[22:23], v[138:139]
	v_mul_f64_e32 v[138:139], s[44:45], v[190:191]
	v_add_f64_e32 v[42:43], v[42:43], v[40:41]
	v_fma_f64 v[40:41], v[44:45], s[14:15], -v[54:55]
	v_fma_f64 v[54:55], v[66:67], s[24:25], v[130:131]
	v_fma_f64 v[44:45], v[44:45], s[2:3], -v[140:141]
	v_mul_f64_e32 v[66:67], s[38:39], v[194:195]
	v_add_f64_e32 v[42:43], v[48:49], v[42:43]
	v_add_f64_e32 v[40:41], v[40:41], v[38:39]
	v_fma_f64 v[38:39], v[68:69], s[16:17], -v[124:125]
	v_fma_f64 v[48:49], v[70:71], s[28:29], v[126:127]
	ds_store_b128 v76, v[12:15] offset:32
	ds_store_b128 v76, v[248:251] offset:48
	;; [unrolled: 1-line block ×7, first 2 shown]
	ds_store_b128 v76, v[0:3]
	ds_store_b128 v76, v[28:31] offset:128
	ds_store_b128 v76, v[252:255] offset:144
	v_add_f64_e64 v[12:13], v[246:247], -v[230:231]
	v_add_f64_e64 v[14:15], v[178:179], -v[222:223]
	ds_store_b128 v76, v[16:19] offset:160
	ds_store_b128 v76, v[8:11] offset:176
	v_add_f64_e32 v[22:23], v[176:177], v[220:221]
	v_add_f64_e32 v[38:39], v[38:39], v[87:88]
	;; [unrolled: 1-line block ×3, first 2 shown]
	v_add_f64_e64 v[16:17], v[244:245], -v[228:229]
	v_add_f64_e64 v[18:19], v[176:177], -v[220:221]
	v_add_f64_e32 v[88:89], v[246:247], v[230:231]
	v_add_f64_e32 v[30:31], v[168:169], v[224:225]
	;; [unrolled: 1-line block ×4, first 2 shown]
	v_mul_f64_e32 v[68:69], s[42:43], v[186:187]
	v_mul_f64_e32 v[70:71], s[30:31], v[190:191]
	;; [unrolled: 1-line block ×3, first 2 shown]
	v_dual_mov_b32 v32, v160 :: v_dual_mov_b32 v33, v161
	v_dual_mov_b32 v34, v162 :: v_dual_mov_b32 v35, v163
	v_mul_f64_e32 v[24:25], s[28:29], v[184:185]
	v_mul_f64_e32 v[40:41], s[44:45], v[188:189]
	;; [unrolled: 1-line block ×8, first 2 shown]
	v_add_f64_e32 v[38:39], v[50:51], v[38:39]
	v_add_f64_e32 v[48:49], v[54:55], v[48:49]
	v_fma_f64 v[50:51], v[60:61], s[20:21], v[134:135]
	v_mul_f64_e32 v[86:87], s[36:37], v[16:17]
	v_mul_f64_e32 v[4:5], s[28:29], v[18:19]
	v_add_f64_e32 v[60:61], v[166:167], v[234:235]
	v_mul_f64_e32 v[128:129], s[28:29], v[16:17]
	v_mul_f64_e32 v[72:73], s[20:21], v[18:19]
	;; [unrolled: 1-line block ×15, first 2 shown]
	v_fma_f64 v[0:1], v[84:85], s[18:19], v[82:83]
	scratch_store_b64 off, v[2:3], off offset:764 ; 8-byte Folded Spill
	v_fma_f64 v[2:3], v[22:23], s[16:17], v[2:3]
	v_add_f64_e32 v[38:39], v[46:47], v[38:39]
	v_fma_f64 v[46:47], v[56:57], s[8:9], -v[136:137]
	v_add_f64_e32 v[48:49], v[50:51], v[48:49]
	v_add_f64_e32 v[56:57], v[158:159], v[218:219]
	scratch_store_b64 off, v[4:5], off offset:788 ; 8-byte Folded Spill
	v_mul_f64_e32 v[50:51], s[26:27], v[182:183]
	v_mul_f64_e32 v[136:137], s[24:25], v[186:187]
	v_fma_f64 v[6:7], v[22:23], s[8:9], v[130:131]
	v_fma_f64 v[10:11], v[22:23], s[14:15], v[238:239]
	v_add_f64_e32 v[0:1], v[240:241], v[0:1]
	v_add_f64_e32 v[38:39], v[46:47], v[38:39]
	v_fma_f64 v[46:47], v[52:53], s[26:27], v[142:143]
	v_add_f64_e32 v[48:49], v[36:37], v[48:49]
	v_add_f64_e32 v[52:53], v[174:175], v[162:163]
	v_mul_f64_e32 v[142:143], s[38:39], v[184:185]
	v_mul_f64_e32 v[162:163], s[44:45], v[186:187]
	;; [unrolled: 1-line block ×3, first 2 shown]
	v_add_f64_e32 v[0:1], v[2:3], v[0:1]
	v_fma_f64 v[2:3], v[88:89], s[18:19], -v[86:87]
	v_add_f64_e32 v[36:37], v[44:45], v[38:39]
	v_add_f64_e32 v[38:39], v[46:47], v[48:49]
	;; [unrolled: 1-line block ×3, first 2 shown]
	v_mul_f64_e32 v[46:47], s[20:21], v[14:15]
	v_fma_f64 v[14:15], v[22:23], s[18:19], v[200:201]
	v_fma_f64 v[200:201], v[22:23], s[18:19], -v[200:201]
	v_add_f64_e32 v[2:3], v[242:243], v[2:3]
	ds_store_b128 v76, v[36:39] offset:192
	v_add_f64_e32 v[36:37], v[178:179], v[222:223]
	v_add_f64_e32 v[38:39], v[164:165], v[232:233]
	v_mul_f64_e32 v[76:77], s[42:43], v[188:189]
	s_delay_alu instid0(VALU_DEP_3) | instskip(SKIP_3) | instid1(VALU_DEP_4)
	v_fma_f64 v[4:5], v[36:37], s[16:17], -v[4:5]
	v_fma_f64 v[8:9], v[36:37], s[8:9], -v[140:141]
	;; [unrolled: 1-line block ×3, first 2 shown]
	v_mul_f64_e32 v[204:205], s[18:19], v[36:37]
	v_add_f64_e32 v[2:3], v[4:5], v[2:3]
	v_mul_f64_e32 v[4:5], s[24:25], v[182:183]
	s_delay_alu instid0(VALU_DEP_3) | instskip(SKIP_3) | instid1(VALU_DEP_1)
	v_fma_f64 v[206:207], v[18:19], s[36:37], v[204:205]
	v_fma_f64 v[18:19], v[18:19], s[38:39], v[204:205]
	scratch_store_b64 off, v[4:5], off offset:780 ; 8-byte Folded Spill
	v_fma_f64 v[4:5], v[30:31], s[14:15], v[4:5]
	v_add_f64_e32 v[0:1], v[4:5], v[0:1]
	v_mul_f64_e32 v[4:5], s[24:25], v[184:185]
	scratch_store_b64 off, v[4:5], off offset:812 ; 8-byte Folded Spill
	v_fma_f64 v[4:5], v[48:49], s[14:15], -v[4:5]
	s_delay_alu instid0(VALU_DEP_1) | instskip(SKIP_4) | instid1(VALU_DEP_1)
	v_add_f64_e32 v[2:3], v[4:5], v[2:3]
	v_mul_f64_e32 v[4:5], s[20:21], v[186:187]
	v_mul_f64_e32 v[186:187], s[34:35], v[186:187]
	scratch_store_b64 off, v[4:5], off offset:804 ; 8-byte Folded Spill
	v_fma_f64 v[4:5], v[42:43], s[12:13], v[4:5]
	v_add_f64_e32 v[0:1], v[4:5], v[0:1]
	v_mul_f64_e32 v[4:5], s[20:21], v[188:189]
	scratch_store_b64 off, v[4:5], off offset:828 ; 8-byte Folded Spill
	v_fma_f64 v[4:5], v[56:57], s[12:13], -v[4:5]
	s_delay_alu instid0(VALU_DEP_1) | instskip(SKIP_4) | instid1(VALU_DEP_1)
	v_add_f64_e32 v[2:3], v[4:5], v[2:3]
	v_mul_f64_e32 v[4:5], s[22:23], v[190:191]
	v_mul_f64_e32 v[190:191], s[20:21], v[190:191]
	scratch_store_b64 off, v[4:5], off offset:796 ; 8-byte Folded Spill
	v_fma_f64 v[4:5], v[38:39], s[8:9], v[4:5]
	v_add_f64_e32 v[0:1], v[4:5], v[0:1]
	v_mul_f64_e32 v[4:5], s[22:23], v[192:193]
	scratch_store_b64 off, v[4:5], off offset:836 ; 8-byte Folded Spill
	v_fma_f64 v[4:5], v[60:61], s[8:9], -v[4:5]
	s_delay_alu instid0(VALU_DEP_1) | instskip(SKIP_3) | instid1(VALU_DEP_1)
	v_add_f64_e32 v[2:3], v[4:5], v[2:3]
	v_mul_f64_e32 v[4:5], s[26:27], v[194:195]
	scratch_store_b64 off, v[4:5], off offset:772 ; 8-byte Folded Spill
	v_fma_f64 v[4:5], v[26:27], s[2:3], v[4:5]
	v_add_f64_e32 v[248:249], v[4:5], v[0:1]
	v_mul_f64_e32 v[0:1], s[26:27], v[196:197]
	v_fma_f64 v[4:5], v[36:37], s[12:13], -v[72:73]
	scratch_store_b64 off, v[0:1], off offset:820 ; 8-byte Folded Spill
	v_fma_f64 v[0:1], v[52:53], s[2:3], -v[0:1]
	s_delay_alu instid0(VALU_DEP_1) | instskip(SKIP_2) | instid1(VALU_DEP_2)
	v_add_f64_e32 v[250:251], v[0:1], v[2:3]
	v_fma_f64 v[0:1], v[84:85], s[16:17], v[126:127]
	v_fma_f64 v[2:3], v[22:23], s[12:13], v[46:47]
	v_add_f64_e32 v[0:1], v[240:241], v[0:1]
	s_delay_alu instid0(VALU_DEP_1) | instskip(SKIP_1) | instid1(VALU_DEP_1)
	v_add_f64_e32 v[0:1], v[2:3], v[0:1]
	v_fma_f64 v[2:3], v[88:89], s[16:17], -v[128:129]
	v_add_f64_e32 v[2:3], v[242:243], v[2:3]
	s_delay_alu instid0(VALU_DEP_1) | instskip(SKIP_1) | instid1(VALU_DEP_1)
	v_add_f64_e32 v[2:3], v[4:5], v[2:3]
	v_fma_f64 v[4:5], v[30:31], s[2:3], v[50:51]
	v_add_f64_e32 v[0:1], v[4:5], v[0:1]
	v_fma_f64 v[4:5], v[48:49], s[2:3], -v[74:75]
	s_delay_alu instid0(VALU_DEP_1) | instskip(SKIP_1) | instid1(VALU_DEP_1)
	v_add_f64_e32 v[2:3], v[4:5], v[2:3]
	v_fma_f64 v[4:5], v[42:43], s[8:9], v[68:69]
	v_add_f64_e32 v[0:1], v[4:5], v[0:1]
	v_fma_f64 v[4:5], v[56:57], s[8:9], -v[76:77]
	;; [unrolled: 5-line block ×4, first 2 shown]
	v_fma_f64 v[4:5], v[36:37], s[2:3], -v[116:117]
	s_delay_alu instid0(VALU_DEP_2) | instskip(SKIP_2) | instid1(VALU_DEP_2)
	v_add_f64_e32 v[254:255], v[0:1], v[2:3]
	v_fma_f64 v[0:1], v[84:85], s[14:15], v[150:151]
	v_fma_f64 v[2:3], v[22:23], s[2:3], v[90:91]
	v_add_f64_e32 v[0:1], v[240:241], v[0:1]
	s_delay_alu instid0(VALU_DEP_1) | instskip(SKIP_1) | instid1(VALU_DEP_1)
	v_add_f64_e32 v[0:1], v[2:3], v[0:1]
	v_fma_f64 v[2:3], v[88:89], s[14:15], -v[152:153]
	v_add_f64_e32 v[2:3], v[242:243], v[2:3]
	s_delay_alu instid0(VALU_DEP_1) | instskip(SKIP_1) | instid1(VALU_DEP_1)
	v_add_f64_e32 v[2:3], v[4:5], v[2:3]
	v_fma_f64 v[4:5], v[30:31], s[12:13], v[92:93]
	v_add_f64_e32 v[0:1], v[4:5], v[0:1]
	v_fma_f64 v[4:5], v[48:49], s[12:13], -v[118:119]
	s_delay_alu instid0(VALU_DEP_1) | instskip(SKIP_1) | instid1(VALU_DEP_1)
	v_add_f64_e32 v[2:3], v[4:5], v[2:3]
	v_fma_f64 v[4:5], v[42:43], s[18:19], v[96:97]
	v_add_f64_e32 v[0:1], v[4:5], v[0:1]
	v_fma_f64 v[4:5], v[56:57], s[18:19], -v[120:121]
	;; [unrolled: 5-line block ×4, first 2 shown]
	s_delay_alu instid0(VALU_DEP_1) | instskip(SKIP_1) | instid1(VALU_DEP_1)
	v_add_f64_e32 v[2:3], v[4:5], v[2:3]
	v_fma_f64 v[4:5], v[84:85], s[12:13], v[154:155]
	v_add_f64_e32 v[4:5], v[240:241], v[4:5]
	s_delay_alu instid0(VALU_DEP_1) | instskip(SKIP_1) | instid1(VALU_DEP_1)
	v_add_f64_e32 v[4:5], v[6:7], v[4:5]
	v_fma_f64 v[6:7], v[88:89], s[12:13], -v[236:237]
	v_add_f64_e32 v[6:7], v[242:243], v[6:7]
	s_delay_alu instid0(VALU_DEP_1) | instskip(SKIP_1) | instid1(VALU_DEP_1)
	v_add_f64_e32 v[6:7], v[8:9], v[6:7]
	v_fma_f64 v[8:9], v[30:31], s[18:19], v[132:133]
	v_add_f64_e32 v[4:5], v[8:9], v[4:5]
	v_fma_f64 v[8:9], v[48:49], s[18:19], -v[142:143]
	s_delay_alu instid0(VALU_DEP_1) | instskip(SKIP_1) | instid1(VALU_DEP_1)
	v_add_f64_e32 v[6:7], v[8:9], v[6:7]
	v_fma_f64 v[8:9], v[42:43], s[14:15], v[136:137]
	v_add_f64_e32 v[4:5], v[8:9], v[4:5]
	v_fma_f64 v[8:9], v[56:57], s[14:15], -v[144:145]
	;; [unrolled: 5-line block ×4, first 2 shown]
	s_delay_alu instid0(VALU_DEP_1) | instskip(SKIP_1) | instid1(VALU_DEP_1)
	v_add_f64_e32 v[6:7], v[8:9], v[6:7]
	v_fma_f64 v[8:9], v[84:85], s[8:9], v[54:55]
	v_add_f64_e32 v[8:9], v[240:241], v[8:9]
	s_delay_alu instid0(VALU_DEP_1) | instskip(SKIP_1) | instid1(VALU_DEP_1)
	v_add_f64_e32 v[8:9], v[10:11], v[8:9]
	v_fma_f64 v[10:11], v[88:89], s[8:9], -v[58:59]
	v_add_f64_e32 v[10:11], v[242:243], v[10:11]
	s_delay_alu instid0(VALU_DEP_1) | instskip(SKIP_2) | instid1(VALU_DEP_2)
	v_add_f64_e32 v[10:11], v[44:45], v[10:11]
	v_mul_f64_e32 v[44:45], s[28:29], v[182:183]
	v_mul_f64_e32 v[182:183], s[22:23], v[182:183]
	v_fma_f64 v[160:161], v[30:31], s[16:17], v[44:45]
	s_delay_alu instid0(VALU_DEP_1) | instskip(SKIP_1) | instid1(VALU_DEP_1)
	v_add_f64_e32 v[8:9], v[160:161], v[8:9]
	v_fma_f64 v[160:161], v[48:49], s[16:17], -v[24:25]
	v_add_f64_e32 v[10:11], v[160:161], v[10:11]
	v_fma_f64 v[160:161], v[42:43], s[2:3], v[162:163]
	s_delay_alu instid0(VALU_DEP_1) | instskip(SKIP_1) | instid1(VALU_DEP_1)
	v_add_f64_e32 v[8:9], v[160:161], v[8:9]
	v_fma_f64 v[160:161], v[56:57], s[2:3], -v[40:41]
	v_add_f64_e32 v[10:11], v[160:161], v[10:11]
	v_fma_f64 v[160:161], v[38:39], s[18:19], v[28:29]
	s_delay_alu instid0(VALU_DEP_1) | instskip(SKIP_1) | instid1(VALU_DEP_1)
	v_add_f64_e32 v[8:9], v[160:161], v[8:9]
	v_fma_f64 v[160:161], v[60:61], s[18:19], -v[174:175]
	v_add_f64_e32 v[10:11], v[160:161], v[10:11]
	v_mul_f64_e32 v[160:161], s[20:21], v[194:195]
	v_mul_f64_e32 v[194:195], s[30:31], v[194:195]
	s_delay_alu instid0(VALU_DEP_2) | instskip(NEXT) | instid1(VALU_DEP_1)
	v_fma_f64 v[172:173], v[26:27], s[12:13], v[160:161]
	v_add_f64_e32 v[8:9], v[172:173], v[8:9]
	v_mul_f64_e32 v[172:173], s[20:21], v[196:197]
	s_delay_alu instid0(VALU_DEP_1) | instskip(NEXT) | instid1(VALU_DEP_1)
	v_fma_f64 v[198:199], v[52:53], s[12:13], -v[172:173]
	v_add_f64_e32 v[10:11], v[198:199], v[10:11]
	v_mul_f64_e32 v[198:199], s[26:27], v[12:13]
	s_delay_alu instid0(VALU_DEP_1) | instskip(SKIP_1) | instid1(VALU_DEP_2)
	v_fma_f64 v[12:13], v[84:85], s[2:3], v[198:199]
	v_fma_f64 v[198:199], v[84:85], s[2:3], -v[198:199]
	v_add_f64_e32 v[12:13], v[240:241], v[12:13]
	s_delay_alu instid0(VALU_DEP_2) | instskip(NEXT) | instid1(VALU_DEP_2)
	v_add_f64_e32 v[198:199], v[240:241], v[198:199]
	v_add_f64_e32 v[12:13], v[14:15], v[12:13]
	v_fma_f64 v[14:15], v[16:17], s[44:45], v[202:203]
	v_fma_f64 v[16:17], v[16:17], s[26:27], v[202:203]
	s_delay_alu instid0(VALU_DEP_4) | instskip(NEXT) | instid1(VALU_DEP_3)
	v_add_f64_e32 v[198:199], v[200:201], v[198:199]
	v_add_f64_e32 v[14:15], v[242:243], v[14:15]
	s_delay_alu instid0(VALU_DEP_3) | instskip(NEXT) | instid1(VALU_DEP_2)
	v_add_f64_e32 v[16:17], v[242:243], v[16:17]
	v_add_f64_e32 v[14:15], v[206:207], v[14:15]
	v_fma_f64 v[206:207], v[30:31], s[8:9], v[182:183]
	s_delay_alu instid0(VALU_DEP_3) | instskip(SKIP_1) | instid1(VALU_DEP_3)
	v_add_f64_e32 v[16:17], v[18:19], v[16:17]
	v_fma_f64 v[182:183], v[30:31], s[8:9], -v[182:183]
	v_add_f64_e32 v[12:13], v[206:207], v[12:13]
	v_mul_f64_e32 v[206:207], s[8:9], v[48:49]
	s_delay_alu instid0(VALU_DEP_3) | instskip(NEXT) | instid1(VALU_DEP_2)
	v_add_f64_e32 v[182:183], v[182:183], v[198:199]
	v_fma_f64 v[208:209], v[184:185], s[42:43], v[206:207]
	v_fma_f64 v[18:19], v[184:185], s[22:23], v[206:207]
	v_fma_f64 v[184:185], v[42:43], s[16:17], -v[186:187]
	s_delay_alu instid0(VALU_DEP_3) | instskip(SKIP_1) | instid1(VALU_DEP_4)
	v_add_f64_e32 v[14:15], v[208:209], v[14:15]
	v_fma_f64 v[208:209], v[42:43], s[16:17], v[186:187]
	v_add_f64_e32 v[16:17], v[18:19], v[16:17]
	s_delay_alu instid0(VALU_DEP_4) | instskip(SKIP_1) | instid1(VALU_DEP_4)
	v_add_f64_e32 v[182:183], v[184:185], v[182:183]
	v_fma_f64 v[184:185], v[38:39], s[12:13], -v[190:191]
	v_add_f64_e32 v[12:13], v[208:209], v[12:13]
	v_mul_f64_e32 v[208:209], s[16:17], v[56:57]
	s_delay_alu instid0(VALU_DEP_3) | instskip(NEXT) | instid1(VALU_DEP_2)
	v_add_f64_e32 v[182:183], v[184:185], v[182:183]
	v_fma_f64 v[210:211], v[188:189], s[28:29], v[208:209]
	v_fma_f64 v[18:19], v[188:189], s[34:35], v[208:209]
	s_delay_alu instid0(VALU_DEP_2) | instskip(SKIP_1) | instid1(VALU_DEP_3)
	v_add_f64_e32 v[14:15], v[210:211], v[14:15]
	v_fma_f64 v[210:211], v[38:39], s[12:13], v[190:191]
	v_add_f64_e32 v[16:17], v[18:19], v[16:17]
	s_delay_alu instid0(VALU_DEP_2) | instskip(SKIP_1) | instid1(VALU_DEP_1)
	v_add_f64_e32 v[12:13], v[210:211], v[12:13]
	v_mul_f64_e32 v[210:211], s[12:13], v[60:61]
	v_fma_f64 v[212:213], v[192:193], s[40:41], v[210:211]
	v_fma_f64 v[18:19], v[192:193], s[20:21], v[210:211]
	s_delay_alu instid0(VALU_DEP_2) | instskip(SKIP_1) | instid1(VALU_DEP_3)
	v_add_f64_e32 v[14:15], v[212:213], v[14:15]
	v_fma_f64 v[212:213], v[26:27], s[14:15], v[194:195]
	v_add_f64_e32 v[18:19], v[18:19], v[16:17]
	v_fma_f64 v[16:17], v[26:27], s[14:15], -v[194:195]
	s_delay_alu instid0(VALU_DEP_3) | instskip(SKIP_1) | instid1(VALU_DEP_3)
	v_add_f64_e32 v[12:13], v[212:213], v[12:13]
	v_mul_f64_e32 v[212:213], s[14:15], v[52:53]
	v_add_f64_e32 v[16:17], v[16:17], v[182:183]
	s_delay_alu instid0(VALU_DEP_2) | instskip(SKIP_1) | instid1(VALU_DEP_2)
	v_fma_f64 v[214:215], v[196:197], s[24:25], v[212:213]
	v_fma_f64 v[184:185], v[196:197], s[30:31], v[212:213]
	v_add_f64_e32 v[14:15], v[214:215], v[14:15]
	s_delay_alu instid0(VALU_DEP_2)
	v_add_f64_e32 v[18:19], v[184:185], v[18:19]
	s_and_saveexec_b32 s1, vcc_lo
	s_cbranch_execz .LBB0_17
; %bb.16:
	v_add_f64_e32 v[182:183], v[242:243], v[246:247]
	v_add_f64_e32 v[184:185], v[240:241], v[244:245]
	v_mul_f64_e32 v[186:187], s[8:9], v[88:89]
	s_delay_alu instid0(VALU_DEP_3) | instskip(NEXT) | instid1(VALU_DEP_3)
	v_add_f64_e32 v[182:183], v[182:183], v[178:179]
	v_add_f64_e32 v[184:185], v[184:185], v[176:177]
	s_delay_alu instid0(VALU_DEP_3) | instskip(SKIP_1) | instid1(VALU_DEP_4)
	v_add_f64_e32 v[178:179], v[58:59], v[186:187]
	v_mul_f64_e32 v[186:187], s[8:9], v[84:85]
	v_add_f64_e32 v[182:183], v[182:183], v[170:171]
	s_delay_alu instid0(VALU_DEP_4) | instskip(SKIP_1) | instid1(VALU_DEP_4)
	v_add_f64_e32 v[184:185], v[184:185], v[168:169]
	v_mul_f64_e32 v[168:169], s[16:17], v[30:31]
	v_add_f64_e64 v[176:177], v[186:187], -v[54:55]
	v_mul_f64_e32 v[186:187], s[12:13], v[88:89]
	v_mul_f64_e32 v[170:171], s[2:3], v[42:43]
	v_add_f64_e32 v[182:183], v[182:183], v[158:159]
	v_add_f64_e32 v[184:185], v[184:185], v[156:157]
	v_add_f64_e64 v[44:45], v[168:169], -v[44:45]
	v_mul_f64_e32 v[168:169], s[2:3], v[56:57]
	v_add_f64_e32 v[156:157], v[236:237], v[186:187]
	v_mul_f64_e32 v[186:187], s[12:13], v[84:85]
	v_add_f64_e64 v[162:163], v[170:171], -v[162:163]
	v_mul_f64_e32 v[170:171], s[18:19], v[60:61]
	v_add_f64_e32 v[182:183], v[182:183], v[166:167]
	v_mul_f64_e32 v[166:167], s[14:15], v[22:23]
	v_add_f64_e32 v[184:185], v[184:185], v[164:165]
	v_add_f64_e32 v[168:169], v[40:41], v[168:169]
	;; [unrolled: 1-line block ×3, first 2 shown]
	v_add_f64_e64 v[154:155], v[186:187], -v[154:155]
	v_mul_f64_e32 v[186:187], s[14:15], v[88:89]
	v_add_f64_e32 v[170:171], v[174:175], v[170:171]
	v_add_f64_e32 v[182:183], v[182:183], v[64:65]
	v_add_f64_e64 v[158:159], v[166:167], -v[238:239]
	v_mul_f64_e32 v[166:167], s[16:17], v[48:49]
	v_add_f64_e32 v[184:185], v[184:185], v[62:63]
	v_add_f64_e32 v[154:155], v[240:241], v[154:155]
	;; [unrolled: 1-line block ×3, first 2 shown]
	v_mul_f64_e32 v[186:187], s[14:15], v[84:85]
	v_add_f64_e32 v[182:183], v[182:183], v[34:35]
	v_add_f64_e32 v[166:167], v[24:25], v[166:167]
	;; [unrolled: 1-line block ×3, first 2 shown]
	scratch_load_b64 v[24:25], off, off offset:812 th:TH_LOAD_LU ; 8-byte Folded Reload
	v_add_f64_e32 v[152:153], v[242:243], v[152:153]
	v_add_f64_e64 v[150:151], v[186:187], -v[150:151]
	v_mul_f64_e32 v[186:187], s[16:17], v[88:89]
	v_mul_f64_e32 v[88:89], s[18:19], v[88:89]
	s_delay_alu instid0(VALU_DEP_3) | instskip(NEXT) | instid1(VALU_DEP_3)
	v_add_f64_e32 v[150:151], v[240:241], v[150:151]
	v_add_f64_e32 v[128:129], v[128:129], v[186:187]
	v_mul_f64_e32 v[186:187], s[16:17], v[84:85]
	v_mul_f64_e32 v[84:85], s[18:19], v[84:85]
	v_add_f64_e32 v[86:87], v[86:87], v[88:89]
	v_add_f64_e32 v[88:89], v[240:241], v[176:177]
	;; [unrolled: 1-line block ×3, first 2 shown]
	v_add_f64_e64 v[126:127], v[186:187], -v[126:127]
	v_add_f64_e64 v[82:83], v[84:85], -v[82:83]
	v_add_f64_e32 v[84:85], v[242:243], v[178:179]
	v_add_f64_e32 v[176:177], v[242:243], v[86:87]
	;; [unrolled: 1-line block ×6, first 2 shown]
	v_mul_f64_e32 v[82:83], s[14:15], v[36:37]
	s_delay_alu instid0(VALU_DEP_1)
	v_add_f64_e32 v[82:83], v[20:21], v[82:83]
	scratch_load_b64 v[20:21], off, off offset:788 th:TH_LOAD_LU ; 8-byte Folded Reload
	v_add_f64_e32 v[82:83], v[82:83], v[84:85]
	v_add_f64_e32 v[84:85], v[158:159], v[88:89]
	v_mul_f64_e32 v[88:89], s[18:19], v[38:39]
	v_mul_f64_e32 v[158:159], s[12:13], v[26:27]
	s_delay_alu instid0(VALU_DEP_4) | instskip(NEXT) | instid1(VALU_DEP_4)
	v_add_f64_e32 v[82:83], v[166:167], v[82:83]
	v_add_f64_e32 v[44:45], v[44:45], v[84:85]
	s_delay_alu instid0(VALU_DEP_4) | instskip(SKIP_4) | instid1(VALU_DEP_4)
	v_add_f64_e64 v[88:89], v[88:89], -v[28:29]
	v_mul_f64_e32 v[84:85], s[12:13], v[52:53]
	v_add_f64_e64 v[158:159], v[158:159], -v[160:161]
	v_add_f64_e32 v[82:83], v[168:169], v[82:83]
	v_add_f64_e32 v[44:45], v[162:163], v[44:45]
	;; [unrolled: 1-line block ×3, first 2 shown]
	s_delay_alu instid0(VALU_DEP_3) | instskip(NEXT) | instid1(VALU_DEP_3)
	v_add_f64_e32 v[82:83], v[170:171], v[82:83]
	v_add_f64_e32 v[44:45], v[88:89], v[44:45]
	v_mul_f64_e32 v[88:89], s[8:9], v[22:23]
	s_delay_alu instid0(VALU_DEP_3) | instskip(NEXT) | instid1(VALU_DEP_3)
	v_add_f64_e32 v[84:85], v[84:85], v[82:83]
	v_add_f64_e32 v[82:83], v[158:159], v[44:45]
	;; [unrolled: 1-line block ×3, first 2 shown]
	v_mul_f64_e32 v[86:87], s[8:9], v[36:37]
	v_add_f64_e64 v[88:89], v[88:89], -v[130:131]
	v_mul_f64_e32 v[130:131], s[18:19], v[48:49]
	v_add_f64_e32 v[158:159], v[182:183], v[216:217]
	v_add_f64_e32 v[44:45], v[44:45], v[226:227]
	;; [unrolled: 1-line block ×3, first 2 shown]
	v_mul_f64_e32 v[140:141], s[18:19], v[30:31]
	v_add_f64_e32 v[130:131], v[142:143], v[130:131]
	v_mul_f64_e32 v[142:143], s[14:15], v[42:43]
	v_add_f64_e32 v[88:89], v[88:89], v[154:155]
	v_add_f64_e32 v[44:45], v[44:45], v[222:223]
	;; [unrolled: 1-line block ×3, first 2 shown]
	v_add_f64_e64 v[132:133], v[140:141], -v[132:133]
	v_mul_f64_e32 v[140:141], s[14:15], v[56:57]
	v_add_f64_e64 v[136:137], v[142:143], -v[136:137]
	v_mul_f64_e32 v[142:143], s[2:3], v[60:61]
	v_add_f64_e32 v[86:87], v[130:131], v[86:87]
	v_add_f64_e32 v[88:89], v[132:133], v[88:89]
	v_add_f64_e32 v[140:141], v[144:145], v[140:141]
	v_mul_f64_e32 v[144:145], s[2:3], v[38:39]
	v_add_f64_e32 v[142:143], v[148:149], v[142:143]
	v_mul_f64_e32 v[130:131], s[16:17], v[52:53]
	v_mul_f64_e32 v[132:133], s[16:17], v[26:27]
	v_add_f64_e32 v[88:89], v[136:137], v[88:89]
	v_add_f64_e32 v[86:87], v[140:141], v[86:87]
	v_add_f64_e64 v[138:139], v[144:145], -v[138:139]
	v_add_f64_e32 v[130:131], v[146:147], v[130:131]
	v_add_f64_e64 v[132:133], v[132:133], -v[134:135]
	s_delay_alu instid0(VALU_DEP_4) | instskip(NEXT) | instid1(VALU_DEP_4)
	v_add_f64_e32 v[86:87], v[142:143], v[86:87]
	v_add_f64_e32 v[134:135], v[138:139], v[88:89]
	s_delay_alu instid0(VALU_DEP_2) | instskip(NEXT) | instid1(VALU_DEP_2)
	v_add_f64_e32 v[88:89], v[130:131], v[86:87]
	v_add_f64_e32 v[86:87], v[132:133], v[134:135]
	v_mul_f64_e32 v[132:133], s[2:3], v[36:37]
	v_add_f64_e32 v[130:131], v[158:159], v[224:225]
	s_delay_alu instid0(VALU_DEP_2) | instskip(SKIP_1) | instid1(VALU_DEP_2)
	v_add_f64_e32 v[116:117], v[116:117], v[132:133]
	v_mul_f64_e32 v[132:133], s[2:3], v[22:23]
	v_add_f64_e32 v[116:117], v[116:117], v[152:153]
	s_delay_alu instid0(VALU_DEP_2) | instskip(SKIP_1) | instid1(VALU_DEP_2)
	v_add_f64_e64 v[90:91], v[132:133], -v[90:91]
	v_mul_f64_e32 v[132:133], s[12:13], v[48:49]
	v_add_f64_e32 v[90:91], v[90:91], v[150:151]
	s_delay_alu instid0(VALU_DEP_2) | instskip(SKIP_1) | instid1(VALU_DEP_2)
	v_add_f64_e32 v[118:119], v[118:119], v[132:133]
	v_mul_f64_e32 v[132:133], s[12:13], v[30:31]
	v_add_f64_e32 v[116:117], v[118:119], v[116:117]
	s_delay_alu instid0(VALU_DEP_2) | instskip(SKIP_1) | instid1(VALU_DEP_2)
	v_add_f64_e64 v[92:93], v[132:133], -v[92:93]
	v_mul_f64_e32 v[132:133], s[18:19], v[56:57]
	v_add_f64_e32 v[90:91], v[92:93], v[90:91]
	s_delay_alu instid0(VALU_DEP_2) | instskip(SKIP_2) | instid1(VALU_DEP_3)
	v_add_f64_e32 v[120:121], v[120:121], v[132:133]
	v_mul_f64_e32 v[132:133], s[18:19], v[42:43]
	v_mul_f64_e32 v[92:93], s[8:9], v[52:53]
	v_add_f64_e32 v[116:117], v[120:121], v[116:117]
	s_delay_alu instid0(VALU_DEP_3) | instskip(SKIP_1) | instid1(VALU_DEP_4)
	v_add_f64_e64 v[96:97], v[132:133], -v[96:97]
	v_mul_f64_e32 v[132:133], s[16:17], v[60:61]
	v_add_f64_e32 v[92:93], v[122:123], v[92:93]
	s_delay_alu instid0(VALU_DEP_3) | instskip(NEXT) | instid1(VALU_DEP_3)
	v_add_f64_e32 v[90:91], v[96:97], v[90:91]
	v_add_f64_e32 v[124:125], v[124:125], v[132:133]
	v_mul_f64_e32 v[96:97], s[8:9], v[26:27]
	v_mul_f64_e32 v[132:133], s[16:17], v[38:39]
	s_delay_alu instid0(VALU_DEP_2) | instskip(NEXT) | instid1(VALU_DEP_4)
	v_add_f64_e64 v[94:95], v[96:97], -v[94:95]
	v_add_f64_e32 v[96:97], v[124:125], v[116:117]
	s_delay_alu instid0(VALU_DEP_3) | instskip(NEXT) | instid1(VALU_DEP_2)
	v_add_f64_e64 v[98:99], v[132:133], -v[98:99]
	v_add_f64_e32 v[92:93], v[92:93], v[96:97]
	v_mul_f64_e32 v[96:97], s[12:13], v[36:37]
	v_mul_f64_e32 v[36:37], s[16:17], v[36:37]
	s_delay_alu instid0(VALU_DEP_4) | instskip(NEXT) | instid1(VALU_DEP_3)
	v_add_f64_e32 v[90:91], v[98:99], v[90:91]
	v_add_f64_e32 v[72:73], v[72:73], v[96:97]
	s_wait_loadcnt 0x0
	s_delay_alu instid0(VALU_DEP_3)
	v_add_f64_e32 v[32:33], v[20:21], v[36:37]
	scratch_load_b64 v[20:21], off, off offset:764 th:TH_LOAD_LU ; 8-byte Folded Reload
	v_mul_f64_e32 v[96:97], s[12:13], v[22:23]
	v_mul_f64_e32 v[22:23], s[16:17], v[22:23]
	;; [unrolled: 1-line block ×3, first 2 shown]
	v_add_f64_e32 v[90:91], v[94:95], v[90:91]
	v_add_f64_e32 v[94:95], v[130:131], v[220:221]
	;; [unrolled: 1-line block ×4, first 2 shown]
	v_add_f64_e64 v[62:63], v[96:97], -v[46:47]
	v_mul_f64_e32 v[96:97], s[2:3], v[48:49]
	v_mul_f64_e32 v[46:47], s[8:9], v[60:61]
	s_delay_alu instid0(VALU_DEP_2) | instskip(SKIP_2) | instid1(VALU_DEP_3)
	v_add_f64_e32 v[74:75], v[74:75], v[96:97]
	v_mul_f64_e32 v[96:97], s[2:3], v[30:31]
	v_mul_f64_e32 v[30:31], s[14:15], v[30:31]
	v_add_f64_e32 v[40:41], v[74:75], v[40:41]
	s_delay_alu instid0(VALU_DEP_3) | instskip(SKIP_1) | instid1(VALU_DEP_1)
	v_add_f64_e64 v[64:65], v[96:97], -v[50:51]
	v_mul_f64_e32 v[96:97], s[8:9], v[56:57]
	v_add_f64_e32 v[76:77], v[76:77], v[96:97]
	v_mul_f64_e32 v[96:97], s[8:9], v[42:43]
	v_add_f64_e32 v[42:43], v[62:63], v[126:127]
	s_delay_alu instid0(VALU_DEP_2) | instskip(SKIP_1) | instid1(VALU_DEP_3)
	v_add_f64_e64 v[68:69], v[96:97], -v[68:69]
	v_mul_f64_e32 v[96:97], s[14:15], v[60:61]
	v_add_f64_e32 v[42:43], v[64:65], v[42:43]
	s_delay_alu instid0(VALU_DEP_2) | instskip(SKIP_1) | instid1(VALU_DEP_3)
	v_add_f64_e32 v[80:81], v[80:81], v[96:97]
	v_mul_f64_e32 v[96:97], s[14:15], v[38:39]
	v_add_f64_e32 v[34:35], v[68:69], v[42:43]
	s_delay_alu instid0(VALU_DEP_2) | instskip(SKIP_1) | instid1(VALU_DEP_2)
	v_add_f64_e64 v[70:71], v[96:97], -v[70:71]
	v_mul_f64_e32 v[96:97], s[18:19], v[52:53]
	v_add_f64_e32 v[34:35], v[70:71], v[34:35]
	s_delay_alu instid0(VALU_DEP_2) | instskip(SKIP_4) | instid1(VALU_DEP_3)
	v_add_f64_e32 v[78:79], v[78:79], v[96:97]
	v_mul_f64_e32 v[96:97], s[18:19], v[26:27]
	s_wait_loadcnt 0x0
	v_add_f64_e64 v[20:21], v[22:23], -v[20:21]
	v_mul_f64_e32 v[22:23], s[14:15], v[48:49]
	v_add_f64_e64 v[66:67], v[96:97], -v[66:67]
	s_delay_alu instid0(VALU_DEP_3) | instskip(NEXT) | instid1(VALU_DEP_3)
	v_add_f64_e32 v[20:21], v[20:21], v[178:179]
	v_add_f64_e32 v[22:23], v[24:25], v[22:23]
	scratch_load_b64 v[24:25], off, off offset:780 th:TH_LOAD_LU ; 8-byte Folded Reload
	v_add_f64_e32 v[22:23], v[22:23], v[32:33]
	v_mul_f64_e32 v[32:33], s[8:9], v[38:39]
	s_wait_loadcnt 0x0
	v_add_f64_e64 v[28:29], v[30:31], -v[24:25]
	scratch_load_b64 v[24:25], off, off offset:828 th:TH_LOAD_LU ; 8-byte Folded Reload
	v_mul_f64_e32 v[30:31], s[12:13], v[56:57]
	v_add_f64_e32 v[20:21], v[28:29], v[20:21]
	v_add_f64_e32 v[28:29], v[76:77], v[40:41]
	s_delay_alu instid0(VALU_DEP_1) | instskip(SKIP_1) | instid1(VALU_DEP_4)
	v_add_f64_e32 v[28:29], v[80:81], v[28:29]
	s_wait_loadcnt 0x0
	v_add_f64_e32 v[30:31], v[24:25], v[30:31]
	scratch_load_b64 v[24:25], off, off offset:804 th:TH_LOAD_LU ; 8-byte Folded Reload
	v_add_f64_e32 v[22:23], v[30:31], v[22:23]
	v_mul_f64_e32 v[30:31], s[2:3], v[52:53]
	s_wait_loadcnt 0x0
	v_add_f64_e64 v[36:37], v[36:37], -v[24:25]
	scratch_load_b64 v[24:25], off, off offset:836 th:TH_LOAD_LU ; 8-byte Folded Reload
	v_add_f64_e32 v[20:21], v[36:37], v[20:21]
	s_wait_loadcnt 0x0
	v_add_f64_e32 v[46:47], v[24:25], v[46:47]
	scratch_load_b64 v[24:25], off, off offset:796 th:TH_LOAD_LU ; 8-byte Folded Reload
	v_add_f64_e32 v[36:37], v[46:47], v[22:23]
	v_mul_f64_e32 v[22:23], s[2:3], v[26:27]
	s_wait_loadcnt 0x0
	v_add_f64_e64 v[32:33], v[32:33], -v[24:25]
	scratch_load_b64 v[24:25], off, off offset:820 th:TH_LOAD_LU ; 8-byte Folded Reload
	v_add_f64_e32 v[32:33], v[32:33], v[20:21]
	v_add_f64_e32 v[20:21], v[66:67], v[34:35]
	s_wait_loadcnt 0x0
	v_add_f64_e32 v[30:31], v[24:25], v[30:31]
	scratch_load_b64 v[24:25], off, off offset:772 th:TH_LOAD_LU ; 8-byte Folded Reload
	v_add_f64_e32 v[26:27], v[30:31], v[36:37]
	v_add_f64_e32 v[30:31], v[44:45], v[230:231]
	s_wait_loadcnt 0x0
	v_add_f64_e64 v[24:25], v[22:23], -v[24:25]
	v_add_f64_e32 v[22:23], v[78:79], v[28:29]
	v_add_f64_e32 v[28:29], v[94:95], v[228:229]
	s_delay_alu instid0(VALU_DEP_3)
	v_add_f64_e32 v[24:25], v[24:25], v[32:33]
	s_clause 0x1
	scratch_load_b32 v32, off, off offset:12
	scratch_load_b32 v33, off, off offset:760 th:TH_LOAD_LU
	s_wait_loadcnt 0x0
	v_lshl_add_u32 v32, v33, 4, v32
	ds_store_b128 v32, v[252:255] offset:32
	ds_store_b128 v32, v[0:3] offset:48
	;; [unrolled: 1-line block ×11, first 2 shown]
	ds_store_b128 v32, v[28:31]
	ds_store_b128 v32, v[24:27] offset:192
.LBB0_17:
	s_wait_alu 0xfffe
	s_or_b32 exec_lo, exec_lo, s1
	global_wb scope:SCOPE_SE
	s_wait_storecnt_dscnt 0x0
	s_barrier_signal -1
	s_barrier_wait -1
	global_inv scope:SCOPE_SE
	ds_load_b128 v[24:27], v180
	ds_load_b128 v[20:23], v180 offset:1456
	ds_load_b128 v[220:223], v180 offset:3120
	;; [unrolled: 1-line block ×13, first 2 shown]
	s_and_saveexec_b32 s1, s0
	s_cbranch_execz .LBB0_19
; %bb.18:
	ds_load_b128 v[248:251], v180 offset:2912
	ds_load_b128 v[252:255], v180 offset:6032
	;; [unrolled: 1-line block ×7, first 2 shown]
.LBB0_19:
	s_wait_alu 0xfffe
	s_or_b32 exec_lo, exec_lo, s1
	s_clause 0x6
	scratch_load_b128 v[48:51], off, off offset:232 th:TH_LOAD_LU
	scratch_load_b128 v[52:55], off, off offset:248 th:TH_LOAD_LU
	;; [unrolled: 1-line block ×7, first 2 shown]
	s_mov_b32 s18, 0xe976ee23
	s_mov_b32 s2, 0x429ad128
	;; [unrolled: 1-line block ×7, first 2 shown]
	s_wait_alu 0xfffe
	s_mov_b32 s12, s8
	s_mov_b32 s20, 0x36b3c0b5
	;; [unrolled: 1-line block ×8, first 2 shown]
	s_wait_alu 0xfffe
	s_mov_b32 s16, s14
	s_mov_b32 s24, 0x37c3f68c
	;; [unrolled: 1-line block ×5, first 2 shown]
	s_wait_loadcnt_dscnt 0x60b
	v_mul_f64_e32 v[44:45], v[50:51], v[222:223]
	v_mul_f64_e32 v[46:47], v[50:51], v[220:221]
	s_wait_loadcnt_dscnt 0x509
	v_mul_f64_e32 v[50:51], v[54:55], v[216:217]
	s_delay_alu instid0(VALU_DEP_3) | instskip(NEXT) | instid1(VALU_DEP_3)
	v_fma_f64 v[44:45], v[48:49], v[220:221], v[44:45]
	v_fma_f64 v[46:47], v[48:49], v[222:223], -v[46:47]
	v_mul_f64_e32 v[48:49], v[54:55], v[218:219]
	s_delay_alu instid0(VALU_DEP_4) | instskip(SKIP_2) | instid1(VALU_DEP_3)
	v_fma_f64 v[50:51], v[52:53], v[218:219], -v[50:51]
	s_wait_loadcnt_dscnt 0x401
	v_mul_f64_e32 v[54:55], v[58:59], v[224:225]
	v_fma_f64 v[48:49], v[52:53], v[216:217], v[48:49]
	v_mul_f64_e32 v[52:53], v[58:59], v[226:227]
	s_delay_alu instid0(VALU_DEP_3) | instskip(SKIP_2) | instid1(VALU_DEP_3)
	v_fma_f64 v[54:55], v[56:57], v[226:227], -v[54:55]
	s_wait_loadcnt 0x3
	v_mul_f64_e32 v[58:59], v[62:63], v[92:93]
	v_fma_f64 v[52:53], v[56:57], v[224:225], v[52:53]
	v_mul_f64_e32 v[56:57], v[62:63], v[94:95]
	s_delay_alu instid0(VALU_DEP_3) | instskip(SKIP_2) | instid1(VALU_DEP_3)
	v_fma_f64 v[58:59], v[60:61], v[94:95], -v[58:59]
	s_wait_loadcnt 0x2
	;; [unrolled: 6-line block ×3, first 2 shown]
	v_mul_f64_e32 v[66:67], v[70:71], v[80:81]
	v_fma_f64 v[60:61], v[64:65], v[84:85], v[60:61]
	v_mul_f64_e32 v[64:65], v[70:71], v[82:83]
	s_delay_alu instid0(VALU_DEP_3) | instskip(NEXT) | instid1(VALU_DEP_2)
	v_fma_f64 v[66:67], v[68:69], v[82:83], -v[66:67]
	v_fma_f64 v[64:65], v[68:69], v[80:81], v[64:65]
	scratch_load_b128 v[80:83], off, off offset:344 th:TH_LOAD_LU ; 16-byte Folded Reload
	s_wait_loadcnt_dscnt 0x100
	v_mul_f64_e32 v[68:69], v[74:75], v[90:91]
	v_mul_f64_e32 v[70:71], v[74:75], v[88:89]
	s_delay_alu instid0(VALU_DEP_2) | instskip(NEXT) | instid1(VALU_DEP_2)
	v_fma_f64 v[68:69], v[72:73], v[88:89], v[68:69]
	v_fma_f64 v[70:71], v[72:73], v[90:91], -v[70:71]
	v_add_f64_e32 v[88:89], v[46:47], v[54:55]
	v_add_f64_e32 v[90:91], v[50:51], v[58:59]
	s_delay_alu instid0(VALU_DEP_4) | instskip(NEXT) | instid1(VALU_DEP_4)
	v_add_f64_e32 v[96:97], v[60:61], v[68:69]
	v_add_f64_e32 v[120:121], v[62:63], v[70:71]
	s_wait_loadcnt 0x0
	v_mul_f64_e32 v[72:73], v[82:83], v[78:79]
	v_mul_f64_e32 v[74:75], v[82:83], v[76:77]
	s_delay_alu instid0(VALU_DEP_2) | instskip(NEXT) | instid1(VALU_DEP_2)
	v_fma_f64 v[72:73], v[80:81], v[76:77], v[72:73]
	v_fma_f64 v[74:75], v[80:81], v[78:79], -v[74:75]
	scratch_load_b128 v[78:81], off, off offset:360 th:TH_LOAD_LU ; 16-byte Folded Reload
	v_add_f64_e32 v[98:99], v[64:65], v[72:73]
	v_add_f64_e32 v[122:123], v[66:67], v[74:75]
	s_wait_loadcnt 0x0
	v_mul_f64_e32 v[76:77], v[80:81], v[42:43]
	s_delay_alu instid0(VALU_DEP_1) | instskip(SKIP_1) | instid1(VALU_DEP_1)
	v_fma_f64 v[76:77], v[78:79], v[40:41], v[76:77]
	v_mul_f64_e32 v[40:41], v[80:81], v[40:41]
	v_fma_f64 v[40:41], v[78:79], v[42:43], -v[40:41]
	scratch_load_b128 v[78:81], off, off offset:392 th:TH_LOAD_LU ; 16-byte Folded Reload
	s_wait_loadcnt 0x0
	v_mul_f64_e32 v[42:43], v[80:81], v[38:39]
	s_delay_alu instid0(VALU_DEP_1) | instskip(SKIP_1) | instid1(VALU_DEP_2)
	v_fma_f64 v[42:43], v[78:79], v[36:37], v[42:43]
	v_mul_f64_e32 v[36:37], v[80:81], v[36:37]
	v_add_f64_e32 v[84:85], v[76:77], v[42:43]
	s_delay_alu instid0(VALU_DEP_2)
	v_fma_f64 v[36:37], v[78:79], v[38:39], -v[36:37]
	scratch_load_b128 v[78:81], off, off offset:376 th:TH_LOAD_LU ; 16-byte Folded Reload
	v_add_f64_e32 v[92:93], v[40:41], v[36:37]
	v_add_f64_e64 v[36:37], v[36:37], -v[40:41]
	v_add_f64_e64 v[40:41], v[46:47], -v[54:55]
	;; [unrolled: 1-line block ×4, first 2 shown]
	s_wait_loadcnt 0x0
	v_mul_f64_e32 v[38:39], v[80:81], v[34:35]
	s_delay_alu instid0(VALU_DEP_1)
	v_fma_f64 v[38:39], v[78:79], v[32:33], v[38:39]
	v_mul_f64_e32 v[32:33], v[80:81], v[32:33]
	scratch_load_b128 v[80:83], off, off offset:412 th:TH_LOAD_LU ; 16-byte Folded Reload
	global_wb scope:SCOPE_SE
	s_wait_loadcnt 0x0
	s_barrier_signal -1
	s_barrier_wait -1
	global_inv scope:SCOPE_SE
	v_fma_f64 v[32:33], v[78:79], v[34:35], -v[32:33]
	v_mul_f64_e32 v[34:35], v[82:83], v[30:31]
	v_mul_f64_e32 v[78:79], v[82:83], v[28:29]
	v_add_f64_e32 v[82:83], v[48:49], v[56:57]
	s_delay_alu instid0(VALU_DEP_3) | instskip(NEXT) | instid1(VALU_DEP_3)
	v_fma_f64 v[34:35], v[80:81], v[28:29], v[34:35]
	v_fma_f64 v[78:79], v[80:81], v[30:31], -v[78:79]
	v_add_f64_e32 v[80:81], v[44:45], v[52:53]
	s_delay_alu instid0(VALU_DEP_3) | instskip(NEXT) | instid1(VALU_DEP_3)
	v_add_f64_e32 v[116:117], v[38:39], v[34:35]
	v_add_f64_e32 v[124:125], v[32:33], v[78:79]
	s_delay_alu instid0(VALU_DEP_3)
	v_add_f64_e32 v[28:29], v[82:83], v[80:81]
	v_add_f64_e64 v[34:35], v[34:35], -v[38:39]
	v_add_f64_e64 v[32:33], v[78:79], -v[32:33]
	;; [unrolled: 1-line block ×7, first 2 shown]
	v_add_f64_e32 v[86:87], v[84:85], v[28:29]
	v_add_f64_e32 v[28:29], v[90:91], v[88:89]
	s_delay_alu instid0(VALU_DEP_2) | instskip(NEXT) | instid1(VALU_DEP_2)
	v_add_f64_e32 v[24:25], v[24:25], v[86:87]
	v_add_f64_e32 v[94:95], v[92:93], v[28:29]
	;; [unrolled: 1-line block ×3, first 2 shown]
	s_delay_alu instid0(VALU_DEP_2) | instskip(NEXT) | instid1(VALU_DEP_2)
	v_add_f64_e32 v[26:27], v[26:27], v[94:95]
	v_add_f64_e32 v[118:119], v[116:117], v[28:29]
	v_add_f64_e32 v[28:29], v[122:123], v[120:121]
	s_delay_alu instid0(VALU_DEP_1) | instskip(NEXT) | instid1(VALU_DEP_3)
	v_add_f64_e32 v[126:127], v[124:125], v[28:29]
	v_add_f64_e32 v[28:29], v[20:21], v[118:119]
	v_add_f64_e64 v[20:21], v[48:49], -v[56:57]
	v_add_f64_e64 v[48:49], v[66:67], -v[74:75]
	v_add_f64_e64 v[56:57], v[80:81], -v[84:85]
	v_add_f64_e64 v[66:67], v[98:99], -v[96:97]
	v_add_f64_e64 v[74:75], v[120:121], -v[124:125]
	v_add_f64_e32 v[30:31], v[22:23], v[126:127]
	v_add_f64_e64 v[22:23], v[42:43], -v[76:77]
	v_add_f64_e64 v[42:43], v[44:45], -v[52:53]
	;; [unrolled: 1-line block ×9, first 2 shown]
	v_mul_f64_e32 v[56:57], s[22:23], v[56:57]
	v_add_f64_e64 v[70:71], v[124:125], -v[122:123]
	v_add_f64_e32 v[76:77], v[22:23], v[20:21]
	v_add_f64_e64 v[78:79], v[22:23], -v[20:21]
	v_add_f64_e64 v[20:21], v[20:21], -v[42:43]
	;; [unrolled: 1-line block ×4, first 2 shown]
	v_add_f64_e32 v[42:43], v[76:77], v[42:43]
	v_add_f64_e32 v[76:77], v[36:37], v[44:45]
	v_add_f64_e64 v[44:45], v[44:45], -v[40:41]
	v_add_f64_e64 v[36:37], v[40:41], -v[36:37]
	s_delay_alu instid0(VALU_DEP_3) | instskip(SKIP_3) | instid1(VALU_DEP_3)
	v_add_f64_e32 v[40:41], v[76:77], v[40:41]
	v_add_f64_e32 v[76:77], v[34:35], v[46:47]
	v_add_f64_e64 v[46:47], v[46:47], -v[38:39]
	v_add_f64_e64 v[34:35], v[38:39], -v[34:35]
	v_add_f64_e32 v[38:39], v[76:77], v[38:39]
	v_add_f64_e32 v[76:77], v[32:33], v[48:49]
	v_add_f64_e64 v[48:49], v[48:49], -v[50:51]
	v_add_f64_e64 v[32:33], v[50:51], -v[32:33]
	s_delay_alu instid0(VALU_DEP_3) | instskip(SKIP_2) | instid1(VALU_DEP_2)
	v_add_f64_e32 v[50:51], v[76:77], v[50:51]
	v_mul_f64_e32 v[76:77], s[18:19], v[78:79]
	v_mul_f64_e32 v[78:79], s[2:3], v[20:21]
	v_fma_f64 v[20:21], v[20:21], s[2:3], -v[76:77]
	s_delay_alu instid0(VALU_DEP_2)
	v_fma_f64 v[78:79], v[22:23], s[12:13], -v[78:79]
	v_fma_f64 v[22:23], v[22:23], s[8:9], v[76:77]
	v_mul_f64_e32 v[76:77], s[18:19], v[80:81]
	v_mul_f64_e32 v[80:81], s[2:3], v[44:45]
	s_wait_alu 0xfffe
	v_fma_f64 v[20:21], v[42:43], s[24:25], v[20:21]
	s_delay_alu instid0(VALU_DEP_4) | instskip(NEXT) | instid1(VALU_DEP_4)
	v_fma_f64 v[22:23], v[42:43], s[24:25], v[22:23]
	v_fma_f64 v[44:45], v[44:45], s[2:3], -v[76:77]
	s_delay_alu instid0(VALU_DEP_4) | instskip(SKIP_3) | instid1(VALU_DEP_2)
	v_fma_f64 v[80:81], v[36:37], s[12:13], -v[80:81]
	v_fma_f64 v[36:37], v[36:37], s[8:9], v[76:77]
	v_mul_f64_e32 v[76:77], s[20:21], v[52:53]
	v_fma_f64 v[52:53], v[52:53], s[20:21], v[56:57]
	v_fma_f64 v[76:77], v[54:55], s[14:15], -v[76:77]
	v_fma_f64 v[54:55], v[54:55], s[16:17], -v[56:57]
	v_mul_f64_e32 v[56:57], s[22:23], v[62:63]
	v_mul_f64_e32 v[62:63], s[20:21], v[58:59]
	s_delay_alu instid0(VALU_DEP_1) | instskip(NEXT) | instid1(VALU_DEP_3)
	v_fma_f64 v[62:63], v[60:61], s[14:15], -v[62:63]
	v_fma_f64 v[60:61], v[60:61], s[16:17], -v[56:57]
	v_fma_f64 v[56:57], v[58:59], s[20:21], v[56:57]
	v_mul_f64_e32 v[58:59], s[18:19], v[82:83]
	v_mul_f64_e32 v[82:83], s[2:3], v[46:47]
	s_delay_alu instid0(VALU_DEP_2) | instskip(NEXT) | instid1(VALU_DEP_2)
	v_fma_f64 v[46:47], v[46:47], s[2:3], -v[58:59]
	v_fma_f64 v[82:83], v[34:35], s[12:13], -v[82:83]
	v_fma_f64 v[34:35], v[34:35], s[8:9], v[58:59]
	v_mul_f64_e32 v[58:59], s[18:19], v[84:85]
	v_mul_f64_e32 v[84:85], s[2:3], v[48:49]
	s_delay_alu instid0(VALU_DEP_4) | instskip(NEXT) | instid1(VALU_DEP_4)
	v_fma_f64 v[82:83], v[38:39], s[24:25], v[82:83]
	v_fma_f64 v[88:89], v[38:39], s[24:25], v[34:35]
	s_delay_alu instid0(VALU_DEP_4) | instskip(NEXT) | instid1(VALU_DEP_4)
	v_fma_f64 v[48:49], v[48:49], s[2:3], -v[58:59]
	v_fma_f64 v[84:85], v[32:33], s[12:13], -v[84:85]
	v_fma_f64 v[32:33], v[32:33], s[8:9], v[58:59]
	v_mul_f64_e32 v[58:59], s[22:23], v[68:69]
	v_mul_f64_e32 v[68:69], s[20:21], v[64:65]
	s_delay_alu instid0(VALU_DEP_4) | instskip(NEXT) | instid1(VALU_DEP_4)
	v_fma_f64 v[84:85], v[50:51], s[24:25], v[84:85]
	v_fma_f64 v[90:91], v[50:51], s[24:25], v[32:33]
	s_delay_alu instid0(VALU_DEP_3) | instskip(SKIP_4) | instid1(VALU_DEP_1)
	v_fma_f64 v[68:69], v[66:67], s[14:15], -v[68:69]
	v_fma_f64 v[66:67], v[66:67], s[16:17], -v[58:59]
	v_fma_f64 v[58:59], v[64:65], s[20:21], v[58:59]
	v_mul_f64_e32 v[64:65], s[22:23], v[74:75]
	v_mul_f64_e32 v[74:75], s[20:21], v[70:71]
	v_fma_f64 v[74:75], v[72:73], s[14:15], -v[74:75]
	s_delay_alu instid0(VALU_DEP_3)
	v_fma_f64 v[72:73], v[72:73], s[16:17], -v[64:65]
	v_fma_f64 v[64:65], v[70:71], s[20:21], v[64:65]
	v_fma_f64 v[70:71], v[42:43], s[24:25], v[78:79]
	v_fma_f64 v[78:79], v[40:41], s[24:25], v[36:37]
	v_fma_f64 v[36:37], v[86:87], s[26:27], v[24:25]
	v_fma_f64 v[42:43], v[40:41], s[24:25], v[44:45]
	v_fma_f64 v[44:45], v[40:41], s[24:25], v[80:81]
	v_fma_f64 v[86:87], v[50:51], s[24:25], v[48:49]
	v_fma_f64 v[80:81], v[38:39], s[24:25], v[46:47]
	v_add_f64_e32 v[40:41], v[76:77], v[36:37]
	v_add_f64_e32 v[54:55], v[54:55], v[36:37]
	;; [unrolled: 1-line block ×3, first 2 shown]
	v_fma_f64 v[36:37], v[94:95], s[26:27], v[26:27]
	v_fma_f64 v[76:77], v[126:127], s[26:27], v[30:31]
	v_add_f64_e64 v[32:33], v[40:41], -v[42:43]
	s_delay_alu instid0(VALU_DEP_4) | instskip(NEXT) | instid1(VALU_DEP_4)
	v_add_f64_e32 v[48:49], v[78:79], v[52:53]
	v_add_f64_e32 v[62:63], v[62:63], v[36:37]
	;; [unrolled: 1-line block ×4, first 2 shown]
	v_fma_f64 v[36:37], v[118:119], s[26:27], v[28:29]
	v_add_f64_e64 v[52:53], v[52:53], -v[78:79]
	v_add_f64_e32 v[96:97], v[64:65], v[76:77]
	v_add_f64_e32 v[74:75], v[74:75], v[76:77]
	;; [unrolled: 1-line block ×4, first 2 shown]
	v_add_f64_e64 v[38:39], v[62:63], -v[20:21]
	v_add_f64_e64 v[50:51], v[56:57], -v[22:23]
	v_add_f64_e32 v[68:69], v[68:69], v[36:37]
	v_add_f64_e32 v[92:93], v[66:67], v[36:37]
	;; [unrolled: 1-line block ×5, first 2 shown]
	v_add_f64_e64 v[44:45], v[54:55], -v[44:45]
	v_add_f64_e32 v[54:55], v[22:23], v[56:57]
	scratch_load_b32 v23, off, off offset:432 th:TH_LOAD_LU ; 4-byte Folded Reload
	v_add_f64_e64 v[42:43], v[60:61], -v[70:71]
	v_add_f64_e32 v[46:47], v[70:71], v[60:61]
	v_add_f64_e64 v[70:71], v[96:97], -v[88:89]
	v_add_f64_e64 v[66:67], v[76:77], -v[82:83]
	v_add_f64_e32 v[58:59], v[80:81], v[74:75]
	v_add_f64_e64 v[62:63], v[74:75], -v[80:81]
	v_add_f64_e32 v[74:75], v[82:83], v[76:77]
	v_add_f64_e32 v[78:79], v[88:89], v[96:97]
	v_add_nc_u32_e32 v21, 0xb60, v180
	v_add_nc_u32_e32 v20, 0x1110, v180
	;; [unrolled: 1-line block ×3, first 2 shown]
	s_wait_loadcnt 0x0
	ds_store_b128 v23, v[24:27]
	ds_store_b128 v23, v[48:51] offset:208
	ds_store_b128 v23, v[40:43] offset:416
	;; [unrolled: 1-line block ×6, first 2 shown]
	scratch_load_b32 v23, off, off offset:428 th:TH_LOAD_LU ; 4-byte Folded Reload
	v_add_f64_e64 v[56:57], v[68:69], -v[86:87]
	v_add_f64_e32 v[60:61], v[86:87], v[68:69]
	v_add_f64_e32 v[68:69], v[90:91], v[94:95]
	v_add_f64_e32 v[64:65], v[84:85], v[92:93]
	v_add_f64_e64 v[72:73], v[92:93], -v[84:85]
	v_add_f64_e64 v[76:77], v[94:95], -v[90:91]
	s_wait_loadcnt 0x0
	ds_store_b128 v23, v[28:31]
	ds_store_b128 v23, v[68:71] offset:208
	ds_store_b128 v23, v[64:67] offset:416
	;; [unrolled: 1-line block ×6, first 2 shown]
	s_mov_b32 s1, exec_lo
	scratch_load_b32 v51, off, off offset:12 ; 4-byte Folded Reload
	s_wait_alu 0xfffe
	s_and_b32 s0, s1, s0
	s_wait_alu 0xfffe
	s_mov_b32 exec_lo, s0
	s_cbranch_execz .LBB0_21
; %bb.20:
	s_clause 0x4
	scratch_load_b128 v[56:59], off, off offset:696 th:TH_LOAD_LU
	scratch_load_b128 v[60:63], off, off offset:712 th:TH_LOAD_LU
	;; [unrolled: 1-line block ×5, first 2 shown]
	s_wait_loadcnt 0x4
	v_mul_f64_e32 v[23:24], v[58:59], v[16:17]
	s_wait_loadcnt 0x3
	v_mul_f64_e32 v[27:28], v[62:63], v[12:13]
	v_mul_f64_e32 v[37:38], v[62:63], v[14:15]
	scratch_load_b128 v[62:65], off, off offset:728 th:TH_LOAD_LU ; 16-byte Folded Reload
	s_wait_loadcnt 0x3
	v_mul_f64_e32 v[25:26], v[49:50], v[252:253]
	s_wait_loadcnt 0x2
	v_mul_f64_e32 v[29:30], v[54:55], v[0:1]
	v_mul_f64_e32 v[31:32], v[49:50], v[254:255]
	;; [unrolled: 1-line block ×4, first 2 shown]
	s_wait_loadcnt 0x1
	v_mul_f64_e32 v[39:40], v[68:69], v[10:11]
	v_mul_f64_e32 v[45:46], v[68:69], v[8:9]
	v_fma_f64 v[18:19], v[56:57], v[18:19], -v[23:24]
	v_fma_f64 v[14:15], v[60:61], v[14:15], -v[27:28]
	v_fma_f64 v[12:13], v[60:61], v[12:13], v[37:38]
	v_fma_f64 v[23:24], v[47:48], v[254:255], -v[25:26]
	v_fma_f64 v[2:3], v[52:53], v[2:3], -v[29:30]
	v_fma_f64 v[25:26], v[47:48], v[252:253], v[31:32]
	v_fma_f64 v[16:17], v[56:57], v[16:17], v[33:34]
	;; [unrolled: 1-line block ×4, first 2 shown]
	v_fma_f64 v[10:11], v[66:67], v[10:11], -v[45:46]
	v_add_f64_e32 v[27:28], v[23:24], v[18:19]
	v_add_f64_e32 v[29:30], v[2:3], v[14:15]
	v_add_f64_e64 v[2:3], v[2:3], -v[14:15]
	v_add_f64_e32 v[31:32], v[25:26], v[16:17]
	v_add_f64_e32 v[33:34], v[0:1], v[12:13]
	v_add_f64_e64 v[0:1], v[0:1], -v[12:13]
	s_delay_alu instid0(VALU_DEP_2) | instskip(SKIP_3) | instid1(VALU_DEP_2)
	v_add_f64_e32 v[14:15], v[33:34], v[31:32]
	s_wait_loadcnt 0x0
	v_mul_f64_e32 v[41:42], v[64:65], v[6:7]
	v_mul_f64_e32 v[43:44], v[64:65], v[4:5]
	v_fma_f64 v[4:5], v[62:63], v[4:5], v[41:42]
	s_delay_alu instid0(VALU_DEP_2) | instskip(NEXT) | instid1(VALU_DEP_2)
	v_fma_f64 v[6:7], v[62:63], v[6:7], -v[43:44]
	v_add_f64_e64 v[35:36], v[8:9], -v[4:5]
	s_delay_alu instid0(VALU_DEP_2)
	v_add_f64_e32 v[12:13], v[6:7], v[10:11]
	v_add_f64_e32 v[4:5], v[4:5], v[8:9]
	v_add_f64_e64 v[8:9], v[25:26], -v[16:17]
	v_add_f64_e32 v[16:17], v[29:30], v[27:28]
	v_add_f64_e64 v[6:7], v[10:11], -v[6:7]
	v_add_f64_e64 v[10:11], v[23:24], -v[18:19]
	;; [unrolled: 1-line block ×6, first 2 shown]
	v_add_f64_e32 v[16:17], v[12:13], v[16:17]
	v_add_f64_e64 v[12:13], v[12:13], -v[29:30]
	v_add_f64_e64 v[39:40], v[6:7], -v[2:3]
	v_add_f64_e32 v[14:15], v[4:5], v[14:15]
	v_add_f64_e64 v[4:5], v[4:5], -v[33:34]
	v_add_f64_e64 v[41:42], v[2:3], -v[10:11]
	;; [unrolled: 1-line block ×3, first 2 shown]
	v_add_f64_e32 v[35:36], v[35:36], v[0:1]
	v_add_f64_e32 v[45:46], v[6:7], v[2:3]
	v_add_f64_e64 v[27:28], v[29:30], -v[27:28]
	v_add_f64_e64 v[31:32], v[33:34], -v[31:32]
	;; [unrolled: 1-line block ×3, first 2 shown]
	v_mul_f64_e32 v[18:19], s[18:19], v[18:19]
	v_mul_f64_e32 v[23:24], s[22:23], v[23:24]
	;; [unrolled: 1-line block ×4, first 2 shown]
	v_add_f64_e32 v[2:3], v[250:251], v[16:17]
	v_mul_f64_e32 v[29:30], s[20:21], v[12:13]
	v_mul_f64_e32 v[39:40], s[18:19], v[39:40]
	v_add_f64_e32 v[0:1], v[248:249], v[14:15]
	v_mul_f64_e32 v[33:34], s[20:21], v[4:5]
	v_mul_f64_e32 v[49:50], s[2:3], v[41:42]
	v_add_f64_e32 v[8:9], v[35:36], v[8:9]
	v_add_f64_e32 v[10:11], v[45:46], v[10:11]
	v_fma_f64 v[35:36], v[43:44], s[8:9], v[18:19]
	v_fma_f64 v[12:13], v[12:13], s[20:21], v[23:24]
	;; [unrolled: 1-line block ×3, first 2 shown]
	v_fma_f64 v[43:44], v[43:44], s[12:13], -v[47:48]
	v_fma_f64 v[18:19], v[37:38], s[2:3], -v[18:19]
	v_fma_f64 v[16:17], v[16:17], s[26:27], v[2:3]
	v_fma_f64 v[23:24], v[27:28], s[16:17], -v[23:24]
	v_fma_f64 v[27:28], v[27:28], s[14:15], -v[29:30]
	;; [unrolled: 1-line block ×3, first 2 shown]
	v_fma_f64 v[14:15], v[14:15], s[26:27], v[0:1]
	v_fma_f64 v[25:26], v[31:32], s[16:17], -v[25:26]
	v_fma_f64 v[31:32], v[31:32], s[14:15], -v[33:34]
	v_fma_f64 v[29:30], v[6:7], s[8:9], v[39:40]
	v_fma_f64 v[6:7], v[6:7], s[12:13], -v[49:50]
	v_fma_f64 v[33:34], v[8:9], s[24:25], v[35:36]
	v_fma_f64 v[35:36], v[8:9], s[24:25], v[43:44]
	v_fma_f64 v[8:9], v[8:9], s[24:25], v[18:19]
	v_add_f64_e32 v[12:13], v[12:13], v[16:17]
	v_add_f64_e32 v[23:24], v[23:24], v[16:17]
	;; [unrolled: 1-line block ×3, first 2 shown]
	v_fma_f64 v[37:38], v[10:11], s[24:25], v[37:38]
	v_add_f64_e32 v[4:5], v[4:5], v[14:15]
	v_add_f64_e32 v[43:44], v[25:26], v[14:15]
	;; [unrolled: 1-line block ×3, first 2 shown]
	v_fma_f64 v[39:40], v[10:11], s[24:25], v[29:30]
	v_fma_f64 v[41:42], v[10:11], s[24:25], v[6:7]
	v_add_f64_e32 v[6:7], v[33:34], v[12:13]
	v_add_f64_e64 v[29:30], v[12:13], -v[33:34]
	v_add_f64_e64 v[14:15], v[16:17], -v[8:9]
	v_add_f64_e32 v[18:19], v[8:9], v[16:17]
	v_add_f64_e32 v[10:11], v[35:36], v[23:24]
	v_add_f64_e64 v[25:26], v[23:24], -v[35:36]
	v_add_f64_e64 v[16:17], v[31:32], -v[37:38]
	v_add_f64_e32 v[12:13], v[37:38], v[31:32]
	scratch_load_b32 v31, off, off offset:408 th:TH_LOAD_LU ; 4-byte Folded Reload
	v_add_f64_e32 v[27:28], v[39:40], v[4:5]
	v_add_f64_e32 v[23:24], v[41:42], v[43:44]
	v_add_f64_e64 v[8:9], v[43:44], -v[41:42]
	v_add_f64_e64 v[4:5], v[4:5], -v[39:40]
	s_wait_loadcnt 0x0
	v_lshl_add_u32 v31, v31, 4, v51
	ds_store_b128 v31, v[0:3] offset:20384
	ds_store_b128 v31, v[27:30] offset:20592
	ds_store_b128 v31, v[23:26] offset:20800
	ds_store_b128 v31, v[16:19] offset:21008
	ds_store_b128 v31, v[12:15] offset:21216
	ds_store_b128 v31, v[8:11] offset:21424
	ds_store_b128 v31, v[4:7] offset:21632
.LBB0_21:
	s_or_b32 exec_lo, exec_lo, s1
	global_wb scope:SCOPE_SE
	s_wait_loadcnt_dscnt 0x0
	s_barrier_signal -1
	s_barrier_wait -1
	global_inv scope:SCOPE_SE
	ds_load_b128 v[0:3], v180 offset:4368
	ds_load_b128 v[4:7], v180 offset:8736
	ds_load_b128 v[8:11], v180 offset:13104
	ds_load_b128 v[12:15], v180 offset:17472
	ds_load_b128 v[16:19], v180 offset:5824
	ds_load_b128 v[23:26], v180 offset:10192
	ds_load_b128 v[27:30], v180 offset:14560
	ds_load_b128 v[31:34], v180 offset:18928
	ds_load_b128 v[35:38], v180 offset:2912
	ds_load_b128 v[39:42], v180 offset:7280
	ds_load_b128 v[43:46], v180 offset:11648
	ds_load_b128 v[47:50], v180 offset:16016
	ds_load_b128 v[51:54], v180 offset:20384
	s_clause 0x1
	scratch_load_b128 v[118:121], off, off offset:488 th:TH_LOAD_LU
	scratch_load_b128 v[124:127], off, off offset:520 th:TH_LOAD_LU
	s_mov_b32 s8, 0x134454ff
	s_mov_b32 s9, 0xbfee6f0e
	;; [unrolled: 1-line block ×3, first 2 shown]
	s_wait_alu 0xfffe
	s_mov_b32 s12, s8
	s_mov_b32 s0, 0x4755a5e
	s_wait_dscnt 0xc
	v_mul_f64_e32 v[55:56], v[110:111], v[2:3]
	s_wait_dscnt 0xb
	v_mul_f64_e32 v[59:60], v[106:107], v[6:7]
	;; [unrolled: 2-line block ×4, first 2 shown]
	v_mul_f64_e32 v[67:68], v[114:115], v[12:13]
	v_mul_f64_e32 v[63:64], v[106:107], v[4:5]
	;; [unrolled: 1-line block ×3, first 2 shown]
	s_wait_dscnt 0x5
	v_mul_f64_e32 v[81:82], v[114:115], v[33:34]
	v_mul_f64_e32 v[85:86], v[114:115], v[31:32]
	scratch_load_b128 v[114:117], off, off offset:472 th:TH_LOAD_LU ; 16-byte Folded Reload
	v_mul_f64_e32 v[57:58], v[110:111], v[0:1]
	v_mul_f64_e32 v[75:76], v[106:107], v[25:26]
	;; [unrolled: 1-line block ×7, first 2 shown]
	s_mov_b32 s1, 0xbfe2cf23
	s_mov_b32 s3, 0x3fe2cf23
	s_wait_alu 0xfffe
	s_mov_b32 s2, s0
	v_fma_f64 v[55:56], v[108:109], v[0:1], v[55:56]
	v_fma_f64 v[59:60], v[104:105], v[4:5], v[59:60]
	;; [unrolled: 1-line block ×4, first 2 shown]
	v_fma_f64 v[14:15], v[112:113], v[14:15], -v[67:68]
	v_fma_f64 v[61:62], v[104:105], v[6:7], -v[63:64]
	;; [unrolled: 1-line block ×3, first 2 shown]
	v_fma_f64 v[31:32], v[112:113], v[31:32], v[81:82]
	v_fma_f64 v[33:34], v[112:113], v[33:34], -v[85:86]
	ds_load_b128 v[4:7], v180 offset:1456
	v_fma_f64 v[57:58], v[108:109], v[2:3], -v[57:58]
	v_fma_f64 v[23:24], v[104:105], v[23:24], v[75:76]
	v_fma_f64 v[27:28], v[100:101], v[27:28], v[77:78]
	v_fma_f64 v[25:26], v[104:105], v[25:26], -v[79:80]
	v_fma_f64 v[29:30], v[100:101], v[29:30], -v[83:84]
	v_fma_f64 v[16:17], v[108:109], v[16:17], v[71:72]
	v_fma_f64 v[18:19], v[108:109], v[18:19], -v[73:74]
	ds_load_b128 v[0:3], v180
	s_wait_dscnt 0x0
	v_add_f64_e32 v[65:66], v[0:1], v[55:56]
	v_add_f64_e64 v[77:78], v[55:56], -v[59:60]
	v_add_f64_e32 v[63:64], v[59:60], v[8:9]
	v_add_f64_e32 v[67:68], v[55:56], v[12:13]
	v_add_f64_e64 v[81:82], v[12:13], -v[8:9]
	v_add_f64_e64 v[85:86], v[59:60], -v[55:56]
	v_add_f64_e32 v[71:72], v[61:62], v[10:11]
	v_add_f64_e64 v[55:56], v[55:56], -v[12:13]
	v_add_f64_e64 v[73:74], v[61:62], -v[10:11]
	;; [unrolled: 1-line block ×3, first 2 shown]
	v_add_f64_e32 v[75:76], v[57:58], v[14:15]
	v_add_f64_e64 v[69:70], v[57:58], -v[14:15]
	v_add_f64_e32 v[79:80], v[23:24], v[27:28]
	v_add_f64_e64 v[109:110], v[10:11], -v[14:15]
	v_add_f64_e32 v[83:84], v[16:17], v[31:32]
	v_add_f64_e32 v[111:112], v[4:5], v[16:17]
	v_add_f64_e64 v[133:134], v[18:19], -v[25:26]
	v_add_f64_e32 v[59:60], v[65:66], v[59:60]
	v_fma_f64 v[63:64], v[63:64], -0.5, v[0:1]
	v_fma_f64 v[0:1], v[67:68], -0.5, v[0:1]
	v_add_f64_e32 v[65:66], v[77:78], v[81:82]
	v_add_f64_e64 v[67:68], v[33:34], -v[29:30]
	v_fma_f64 v[71:72], v[71:72], -0.5, v[2:3]
	v_fma_f64 v[79:80], v[79:80], -0.5, v[4:5]
	;; [unrolled: 1-line block ×3, first 2 shown]
	s_delay_alu instid0(VALU_DEP_4)
	v_add_f64_e32 v[67:68], v[133:134], v[67:68]
	s_wait_loadcnt 0x2
	v_mul_f64_e32 v[87:88], v[120:121], v[41:42]
	v_mul_f64_e32 v[89:90], v[120:121], v[39:40]
	scratch_load_b128 v[120:123], off, off offset:504 th:TH_LOAD_LU ; 16-byte Folded Reload
	s_wait_loadcnt 0x2
	v_mul_f64_e32 v[93:94], v[126:127], v[49:50]
	v_mul_f64_e32 v[102:103], v[126:127], v[47:48]
	v_add_f64_e64 v[127:128], v[23:24], -v[27:28]
	global_wb scope:SCOPE_SE
	s_wait_loadcnt 0x0
	s_barrier_signal -1
	s_barrier_wait -1
	global_inv scope:SCOPE_SE
	v_mul_f64_e32 v[91:92], v[116:117], v[45:46]
	v_mul_f64_e32 v[95:96], v[116:117], v[43:44]
	v_fma_f64 v[39:40], v[118:119], v[39:40], v[87:88]
	v_fma_f64 v[41:42], v[118:119], v[41:42], -v[89:90]
	v_add_f64_e32 v[87:88], v[25:26], v[29:30]
	v_fma_f64 v[47:48], v[124:125], v[47:48], v[93:94]
	v_fma_f64 v[49:50], v[124:125], v[49:50], -v[102:103]
	v_add_f64_e32 v[93:94], v[2:3], v[57:58]
	v_add_f64_e64 v[89:90], v[8:9], -v[12:13]
	v_add_f64_e32 v[125:126], v[6:7], v[18:19]
	v_fma_f64 v[2:3], v[75:76], -0.5, v[2:3]
	v_add_f64_e64 v[117:118], v[16:17], -v[23:24]
	v_add_f64_e64 v[75:76], v[29:30], -v[33:34]
	v_add_f64_e32 v[8:9], v[59:60], v[8:9]
	v_fma_f64 v[43:44], v[114:115], v[43:44], v[91:92]
	v_fma_f64 v[45:46], v[114:115], v[45:46], -v[95:96]
	v_add_f64_e32 v[91:92], v[18:19], v[33:34]
	v_add_f64_e64 v[113:114], v[18:19], -v[33:34]
	v_add_f64_e64 v[115:116], v[25:26], -v[29:30]
	;; [unrolled: 1-line block ×3, first 2 shown]
	v_add_f64_e32 v[129:130], v[35:36], v[39:40]
	v_add_f64_e32 v[131:132], v[37:38], v[41:42]
	v_fma_f64 v[87:88], v[87:88], -0.5, v[6:7]
	v_add_f64_e32 v[77:78], v[85:86], v[89:90]
	v_add_f64_e32 v[25:26], v[125:126], v[25:26]
	v_fma_f64 v[85:86], v[69:70], s[8:9], v[63:64]
	v_fma_f64 v[89:90], v[73:74], s[12:13], v[0:1]
	;; [unrolled: 1-line block ×4, first 2 shown]
	v_add_f64_e32 v[95:96], v[43:44], v[47:48]
	v_add_f64_e32 v[101:102], v[45:46], v[49:50]
	v_fma_f64 v[6:7], v[91:92], -0.5, v[6:7]
	v_add_f64_e64 v[83:84], v[45:46], -v[49:50]
	v_add_f64_e64 v[141:142], v[41:42], -v[45:46]
	v_add_f64_e64 v[137:138], v[39:40], -v[43:44]
	v_add_f64_e32 v[75:76], v[18:19], v[75:76]
	v_fma_f64 v[95:96], v[95:96], -0.5, v[35:36]
	v_fma_f64 v[101:102], v[101:102], -0.5, v[37:38]
	v_fma_f64 v[125:126], v[127:128], s[8:9], v[6:7]
	v_fma_f64 v[6:7], v[127:128], s[12:13], v[6:7]
	v_mul_f64_e32 v[97:98], v[122:123], v[53:54]
	v_mul_f64_e32 v[106:107], v[122:123], v[51:52]
	v_add_f64_e64 v[123:124], v[27:28], -v[31:32]
	s_delay_alu instid0(VALU_DEP_3) | instskip(NEXT) | instid1(VALU_DEP_3)
	v_fma_f64 v[51:52], v[120:121], v[51:52], v[97:98]
	v_fma_f64 v[53:54], v[120:121], v[53:54], -v[106:107]
	v_add_f64_e64 v[105:106], v[57:58], -v[61:62]
	v_add_f64_e64 v[107:108], v[14:15], -v[10:11]
	;; [unrolled: 1-line block ×5, first 2 shown]
	v_add_f64_e32 v[61:62], v[93:94], v[61:62]
	v_add_f64_e32 v[23:24], v[111:112], v[23:24]
	v_fma_f64 v[93:94], v[55:56], s[12:13], v[71:72]
	v_add_f64_e64 v[119:120], v[31:32], -v[27:28]
	v_fma_f64 v[71:72], v[55:56], s[8:9], v[71:72]
	v_add_f64_e32 v[97:98], v[39:40], v[51:52]
	v_add_f64_e32 v[103:104], v[41:42], v[53:54]
	v_add_f64_e64 v[135:136], v[41:42], -v[53:54]
	v_add_f64_e64 v[139:140], v[39:40], -v[51:52]
	;; [unrolled: 1-line block ×3, first 2 shown]
	v_add_f64_e32 v[45:46], v[131:132], v[45:46]
	v_add_f64_e64 v[39:40], v[43:44], -v[39:40]
	v_add_f64_e64 v[145:146], v[49:50], -v[53:54]
	v_add_f64_e32 v[81:82], v[105:106], v[107:108]
	v_fma_f64 v[105:106], v[99:100], s[8:9], v[2:3]
	v_fma_f64 v[2:3], v[99:100], s[12:13], v[2:3]
	;; [unrolled: 1-line block ×4, first 2 shown]
	v_add_f64_e32 v[57:58], v[57:58], v[109:110]
	v_fma_f64 v[79:80], v[113:114], s[12:13], v[79:80]
	v_fma_f64 v[109:110], v[115:116], s[12:13], v[4:5]
	;; [unrolled: 1-line block ×4, first 2 shown]
	v_add_f64_e32 v[10:11], v[61:62], v[10:11]
	v_add_f64_e32 v[18:19], v[23:24], v[27:28]
	;; [unrolled: 1-line block ×3, first 2 shown]
	v_fma_f64 v[29:30], v[73:74], s[0:1], v[85:86]
	v_add_f64_e64 v[143:144], v[53:54], -v[49:50]
	v_add_f64_e32 v[117:118], v[117:118], v[119:120]
	v_add_f64_e32 v[119:120], v[121:122], v[123:124]
	v_add_f64_e64 v[91:92], v[51:52], -v[47:48]
	v_fma_f64 v[85:86], v[16:17], s[0:1], v[6:7]
	v_fma_f64 v[35:36], v[97:98], -0.5, v[35:36]
	v_add_f64_e64 v[97:98], v[43:44], -v[47:48]
	v_fma_f64 v[37:38], v[103:104], -0.5, v[37:38]
	v_add_f64_e32 v[43:44], v[129:130], v[43:44]
	v_add_f64_e64 v[103:104], v[47:48], -v[51:52]
	v_fma_f64 v[129:130], v[135:136], s[8:9], v[95:96]
	v_fma_f64 v[95:96], v[135:136], s[12:13], v[95:96]
	;; [unrolled: 1-line block ×4, first 2 shown]
	v_add_f64_e32 v[27:28], v[45:46], v[49:50]
	s_wait_alu 0xfffe
	v_fma_f64 v[45:46], v[99:100], s[2:3], v[93:94]
	v_add_f64_e32 v[123:124], v[41:42], v[145:146]
	v_fma_f64 v[41:42], v[69:70], s[0:1], v[89:90]
	v_fma_f64 v[49:50], v[55:56], s[2:3], v[105:106]
	;; [unrolled: 1-line block ×6, first 2 shown]
	v_add_f64_e32 v[2:3], v[10:11], v[14:15]
	v_add_f64_e32 v[6:7], v[23:24], v[33:34]
	;; [unrolled: 1-line block ×4, first 2 shown]
	v_fma_f64 v[131:132], v[83:84], s[12:13], v[35:36]
	v_fma_f64 v[35:36], v[83:84], s[8:9], v[35:36]
	;; [unrolled: 1-line block ×4, first 2 shown]
	v_add_f64_e32 v[25:26], v[43:44], v[47:48]
	v_fma_f64 v[43:44], v[69:70], s[2:3], v[0:1]
	v_add_f64_e32 v[103:104], v[39:40], v[103:104]
	v_fma_f64 v[39:40], v[73:74], s[2:3], v[63:64]
	v_fma_f64 v[47:48], v[99:100], s[0:1], v[71:72]
	;; [unrolled: 1-line block ×10, first 2 shown]
	v_add_f64_e32 v[0:1], v[8:9], v[12:13]
	v_add_f64_e32 v[10:11], v[27:28], v[53:54]
	v_add_f64_e32 v[4:5], v[18:19], v[31:32]
	v_fma_f64 v[89:90], v[135:136], s[0:1], v[131:132]
	v_fma_f64 v[93:94], v[135:136], s[2:3], v[35:36]
	;; [unrolled: 1-line block ×4, first 2 shown]
	s_mov_b32 s0, 0x372fe950
	s_mov_b32 s1, 0x3fd3c6ef
	v_add_f64_e32 v[8:9], v[25:26], v[51:52]
	s_wait_alu 0xfffe
	v_fma_f64 v[12:13], v[65:66], s[0:1], v[29:30]
	v_fma_f64 v[14:15], v[81:82], s[0:1], v[45:46]
	;; [unrolled: 1-line block ×20, first 2 shown]
	s_mov_b32 s3, 0x3febb67a
	ds_store_b128 v180, v[0:3]
	ds_store_b128 v180, v[12:15] offset:1456
	ds_store_b128 v180, v[23:26] offset:2912
	ds_store_b128 v180, v[27:30] offset:4368
	ds_store_b128 v180, v[16:19] offset:5824
	ds_store_b128 v180, v[4:7] offset:7280
	ds_store_b128 v180, v[31:34] offset:8736
	ds_store_b128 v180, v[39:42] offset:10192
	ds_store_b128 v180, v[43:46] offset:11648
	ds_store_b128 v180, v[35:38] offset:13104
	scratch_load_b32 v0, off, off offset:468 th:TH_LOAD_LU ; 4-byte Folded Reload
	v_fma_f64 v[55:56], v[103:104], s[0:1], v[89:90]
	v_fma_f64 v[57:58], v[123:124], s[0:1], v[99:100]
	;; [unrolled: 1-line block ×4, first 2 shown]
	s_mov_b32 s0, 0xe8584caa
	s_mov_b32 s1, 0xbfebb67a
	s_wait_alu 0xfffe
	s_mov_b32 s2, s0
	s_wait_loadcnt 0x0
	ds_store_b128 v0, v[8:11] offset:14560
	ds_store_b128 v0, v[47:50] offset:16016
	;; [unrolled: 1-line block ×5, first 2 shown]
	global_wb scope:SCOPE_SE
	s_wait_dscnt 0x0
	s_barrier_signal -1
	s_barrier_wait -1
	global_inv scope:SCOPE_SE
	ds_load_b128 v[0:3], v180 offset:7280
	ds_load_b128 v[4:7], v180 offset:14560
	;; [unrolled: 1-line block ×11, first 2 shown]
	s_clause 0x4
	scratch_load_b128 v[87:90], off, off offset:436 th:TH_LOAD_LU
	scratch_load_b128 v[95:98], off, off offset:552 th:TH_LOAD_LU
	;; [unrolled: 1-line block ×5, first 2 shown]
	s_wait_loadcnt_dscnt 0x40a
	v_mul_f64_e32 v[47:48], v[89:90], v[2:3]
	v_mul_f64_e32 v[49:50], v[89:90], v[0:1]
	scratch_load_b128 v[89:92], off, off offset:452 th:TH_LOAD_LU ; 16-byte Folded Reload
	s_wait_loadcnt_dscnt 0x408
	v_mul_f64_e32 v[55:56], v[97:98], v[10:11]
	v_mul_f64_e32 v[57:58], v[97:98], v[8:9]
	scratch_load_b128 v[97:100], off, off offset:568 th:TH_LOAD_LU ; 16-byte Folded Reload
	;; [unrolled: 4-line block ×3, first 2 shown]
	s_wait_dscnt 0x4
	v_mul_f64_e32 v[71:72], v[109:110], v[29:30]
	v_mul_f64_e32 v[75:76], v[109:110], v[27:28]
	scratch_load_b128 v[109:112], off, off offset:632 th:TH_LOAD_LU ; 16-byte Folded Reload
	s_wait_dscnt 0x2
	v_mul_f64_e32 v[83:84], v[115:116], v[35:36]
	v_mul_f64_e32 v[79:80], v[115:116], v[37:38]
	v_fma_f64 v[47:48], v[87:88], v[0:1], v[47:48]
	v_fma_f64 v[49:50], v[87:88], v[2:3], -v[49:50]
	ds_load_b128 v[0:3], v180
	v_fma_f64 v[55:56], v[95:96], v[8:9], v[55:56]
	v_fma_f64 v[57:58], v[95:96], v[10:11], -v[57:58]
	v_fma_f64 v[16:17], v[101:102], v[16:17], v[63:64]
	v_fma_f64 v[18:19], v[101:102], v[18:19], -v[65:66]
	;; [unrolled: 2-line block ×3, first 2 shown]
	v_fma_f64 v[37:38], v[113:114], v[37:38], -v[83:84]
	v_fma_f64 v[35:36], v[113:114], v[35:36], v[79:80]
	s_wait_dscnt 0x1
	s_delay_alu instid0(VALU_DEP_2)
	v_add_f64_e32 v[101:102], v[45:46], v[37:38]
	s_wait_loadcnt 0x3
	v_mul_f64_e32 v[51:52], v[91:92], v[6:7]
	v_mul_f64_e32 v[53:54], v[91:92], v[4:5]
	scratch_load_b128 v[91:94], off, off offset:536 th:TH_LOAD_LU ; 16-byte Folded Reload
	s_wait_loadcnt 0x3
	v_mul_f64_e32 v[67:68], v[99:100], v[25:26]
	v_mul_f64_e32 v[69:70], v[99:100], v[23:24]
	v_add_f64_e32 v[99:100], v[43:44], v[35:36]
	s_wait_loadcnt 0x2
	v_mul_f64_e32 v[73:74], v[105:106], v[33:34]
	v_mul_f64_e32 v[77:78], v[105:106], v[31:32]
	s_wait_loadcnt 0x1
	v_mul_f64_e32 v[81:82], v[111:112], v[41:42]
	v_mul_f64_e32 v[85:86], v[111:112], v[39:40]
	v_fma_f64 v[51:52], v[89:90], v[4:5], v[51:52]
	v_fma_f64 v[53:54], v[89:90], v[6:7], -v[53:54]
	ds_load_b128 v[4:7], v180 offset:1456
	s_wait_dscnt 0x1
	v_add_f64_e32 v[83:84], v[0:1], v[47:48]
	v_fma_f64 v[23:24], v[97:98], v[23:24], v[67:68]
	v_fma_f64 v[25:26], v[97:98], v[25:26], -v[69:70]
	v_fma_f64 v[31:32], v[103:104], v[31:32], v[73:74]
	v_fma_f64 v[33:34], v[103:104], v[33:34], -v[77:78]
	;; [unrolled: 2-line block ×3, first 2 shown]
	s_wait_dscnt 0x0
	v_add_f64_e32 v[87:88], v[4:5], v[55:56]
	v_add_f64_e32 v[89:90], v[6:7], v[57:58]
	;; [unrolled: 1-line block ×4, first 2 shown]
	v_add_f64_e64 v[85:86], v[49:50], -v[53:54]
	v_add_f64_e32 v[49:50], v[2:3], v[49:50]
	v_add_f64_e32 v[71:72], v[16:17], v[23:24]
	v_add_f64_e32 v[73:74], v[18:19], v[25:26]
	v_add_f64_e64 v[47:48], v[47:48], -v[51:52]
	v_add_f64_e64 v[103:104], v[18:19], -v[25:26]
	;; [unrolled: 1-line block ×3, first 2 shown]
	v_add_f64_e32 v[75:76], v[27:28], v[31:32]
	v_add_f64_e32 v[77:78], v[29:30], v[33:34]
	v_add_f64_e32 v[79:80], v[35:36], v[39:40]
	v_add_f64_e32 v[81:82], v[37:38], v[41:42]
	v_add_f64_e64 v[107:108], v[29:30], -v[33:34]
	v_add_f64_e64 v[109:110], v[27:28], -v[31:32]
	;; [unrolled: 1-line block ×4, first 2 shown]
	v_fma_f64 v[63:64], v[63:64], -0.5, v[0:1]
	v_fma_f64 v[65:66], v[65:66], -0.5, v[2:3]
	v_add_f64_e32 v[2:3], v[49:50], v[53:54]
	v_fma_f64 v[79:80], v[79:80], -0.5, v[43:44]
	v_fma_f64 v[81:82], v[81:82], -0.5, v[45:46]
	s_wait_loadcnt 0x0
	v_mul_f64_e32 v[59:60], v[93:94], v[14:15]
	v_mul_f64_e32 v[61:62], v[93:94], v[12:13]
	s_delay_alu instid0(VALU_DEP_2) | instskip(NEXT) | instid1(VALU_DEP_2)
	v_fma_f64 v[59:60], v[91:92], v[12:13], v[59:60]
	v_fma_f64 v[61:62], v[91:92], v[14:15], -v[61:62]
	ds_load_b128 v[8:11], v180 offset:2912
	ds_load_b128 v[12:15], v180 offset:4368
	s_clause 0x1
	scratch_load_b64 v[0:1], off, off offset:176 th:TH_LOAD_LU
	scratch_load_b32 v120, off, off offset:8 th:TH_LOAD_LU
	s_wait_dscnt 0x1
	v_add_f64_e32 v[91:92], v[8:9], v[16:17]
	v_add_f64_e32 v[93:94], v[10:11], v[18:19]
	s_wait_dscnt 0x0
	v_add_f64_e32 v[95:96], v[12:13], v[27:28]
	v_add_f64_e32 v[97:98], v[14:15], v[29:30]
	v_fma_f64 v[71:72], v[71:72], -0.5, v[8:9]
	v_fma_f64 v[73:74], v[73:74], -0.5, v[10:11]
	;; [unrolled: 1-line block ×4, first 2 shown]
	s_wait_alu 0xfffe
	v_fma_f64 v[27:28], v[85:86], s[2:3], v[63:64]
	v_fma_f64 v[29:30], v[47:48], s[0:1], v[65:66]
	v_add_f64_e32 v[16:17], v[99:100], v[39:40]
	v_add_f64_e32 v[18:19], v[101:102], v[41:42]
	;; [unrolled: 1-line block ×4, first 2 shown]
	v_add_f64_e64 v[57:58], v[57:58], -v[61:62]
	v_add_f64_e64 v[55:56], v[55:56], -v[59:60]
	v_add_f64_e32 v[8:9], v[91:92], v[23:24]
	v_add_f64_e32 v[10:11], v[93:94], v[25:26]
	v_fma_f64 v[23:24], v[85:86], s[0:1], v[63:64]
	v_fma_f64 v[25:26], v[47:48], s[2:3], v[65:66]
	v_add_f64_e32 v[12:13], v[95:96], v[31:32]
	v_add_f64_e32 v[14:15], v[97:98], v[33:34]
	v_fma_f64 v[39:40], v[103:104], s[0:1], v[71:72]
	v_fma_f64 v[41:42], v[105:106], s[2:3], v[73:74]
	;; [unrolled: 1-line block ×7, first 2 shown]
	v_fma_f64 v[67:68], v[67:68], -0.5, v[4:5]
	v_fma_f64 v[69:70], v[69:70], -0.5, v[6:7]
	v_add_f64_e32 v[4:5], v[87:88], v[59:60]
	v_add_f64_e32 v[6:7], v[89:90], v[61:62]
	v_fma_f64 v[59:60], v[111:112], s[2:3], v[79:80]
	v_fma_f64 v[61:62], v[113:114], s[0:1], v[81:82]
	;; [unrolled: 1-line block ×8, first 2 shown]
	s_mul_u64 s[0:1], s[4:5], 0x69
	s_wait_loadcnt 0x0
	v_mad_co_u64_u32 v[117:118], null, s4, v120, 0
	v_mov_b32_e32 v119, v0
	v_add_f64_e32 v[0:1], v[83:84], v[51:52]
	v_fma_f64 v[51:52], v[107:108], s[2:3], v[75:76]
	s_wait_alu 0xfffe
	s_lshl_b64 s[2:3], s[0:1], 4
	ds_store_b128 v180, v[0:3]
	ds_store_b128 v181, v[4:7] offset:1456
	ds_store_b128 v181, v[8:11] offset:2912
	;; [unrolled: 1-line block ×14, first 2 shown]
	v_mov_b32_e32 v64, v118
	v_mad_co_u64_u32 v[115:116], null, s6, v119, 0
	global_wb scope:SCOPE_SE
	s_wait_dscnt 0x0
	s_barrier_signal -1
	s_barrier_wait -1
	global_inv scope:SCOPE_SE
	ds_load_b128 v[0:3], v180
	ds_load_b128 v[4:7], v180 offset:1680
	ds_load_b128 v[8:11], v180 offset:3360
	;; [unrolled: 1-line block ×6, first 2 shown]
	v_mov_b32_e32 v63, v116
	s_delay_alu instid0(VALU_DEP_1) | instskip(SKIP_2) | instid1(VALU_DEP_1)
	v_mad_co_u64_u32 v[65:66], null, s7, v119, v[63:64]
	s_mov_b32 s6, 0x18018018
	s_mov_b32 s7, 0x3f480180
	v_mov_b32_e32 v116, v65
	v_mad_co_u64_u32 v[63:64], null, s5, v120, v[64:65]
	s_delay_alu instid0(VALU_DEP_1) | instskip(NEXT) | instid1(VALU_DEP_3)
	v_mov_b32_e32 v118, v63
	v_lshlrev_b64_e32 v[63:64], 4, v[115:116]
	s_delay_alu instid0(VALU_DEP_2) | instskip(NEXT) | instid1(VALU_DEP_2)
	v_lshlrev_b64_e32 v[65:66], 4, v[117:118]
	v_add_co_u32 v28, s0, s10, v63
	s_wait_alu 0xf1ff
	s_delay_alu instid0(VALU_DEP_3) | instskip(NEXT) | instid1(VALU_DEP_2)
	v_add_co_ci_u32_e64 v29, s0, s11, v64, s0
	v_add_co_u32 v54, s0, v28, v65
	s_wait_alu 0xf1ff
	s_delay_alu instid0(VALU_DEP_2)
	v_add_co_ci_u32_e64 v55, s0, v29, v66, s0
	ds_load_b128 v[28:31], v180 offset:11760
	ds_load_b128 v[32:35], v180 offset:13440
	;; [unrolled: 1-line block ×6, first 2 shown]
	s_clause 0x1
	scratch_load_b128 v[112:115], off, off offset:16 th:TH_LOAD_LU
	scratch_load_b128 v[136:139], off, off offset:200 th:TH_LOAD_LU
	s_wait_alu 0xfffe
	v_add_co_u32 v106, s0, v54, s2
	s_wait_alu 0xf1ff
	v_add_co_ci_u32_e64 v107, s0, s3, v55, s0
	s_delay_alu instid0(VALU_DEP_2) | instskip(SKIP_1) | instid1(VALU_DEP_2)
	v_add_co_u32 v108, s0, v106, s2
	s_wait_alu 0xf1ff
	v_add_co_ci_u32_e64 v109, s0, s3, v107, s0
	s_delay_alu instid0(VALU_DEP_2) | instskip(SKIP_1) | instid1(VALU_DEP_2)
	v_add_co_u32 v110, s0, v108, s2
	s_wait_alu 0xf1ff
	v_add_co_ci_u32_e64 v111, s0, s3, v109, s0
	s_wait_loadcnt_dscnt 0x10c
	v_mul_f64_e32 v[52:53], v[114:115], v[2:3]
	v_mul_f64_e32 v[56:57], v[114:115], v[0:1]
	scratch_load_b128 v[114:117], off, off offset:32 th:TH_LOAD_LU ; 16-byte Folded Reload
	s_wait_loadcnt_dscnt 0x102
	v_mul_f64_e32 v[94:95], v[138:139], v[42:43]
	v_mul_f64_e32 v[96:97], v[138:139], v[40:41]
	scratch_load_b128 v[138:141], off, off offset:216 th:TH_LOAD_LU ; 16-byte Folded Reload
	v_fma_f64 v[0:1], v[112:113], v[0:1], v[52:53]
	v_fma_f64 v[52:53], v[112:113], v[2:3], -v[56:57]
	s_delay_alu instid0(VALU_DEP_2)
	v_mul_f64_e32 v[2:3], s[6:7], v[0:1]
	s_wait_loadcnt 0x1
	v_mul_f64_e32 v[58:59], v[116:117], v[6:7]
	v_mul_f64_e32 v[60:61], v[116:117], v[4:5]
	scratch_load_b128 v[116:119], off, off offset:48 th:TH_LOAD_LU ; 16-byte Folded Reload
	s_wait_loadcnt_dscnt 0x100
	v_mul_f64_e32 v[102:103], v[140:141], v[50:51]
	v_mul_f64_e32 v[104:105], v[140:141], v[48:49]
	v_fma_f64 v[56:57], v[114:115], v[4:5], v[58:59]
	v_fma_f64 v[58:59], v[114:115], v[6:7], -v[60:61]
	v_mul_f64_e32 v[4:5], s[6:7], v[52:53]
	s_delay_alu instid0(VALU_DEP_3)
	v_mul_f64_e32 v[6:7], s[6:7], v[56:57]
	s_wait_loadcnt 0x0
	v_mul_f64_e32 v[62:63], v[118:119], v[10:11]
	v_mul_f64_e32 v[64:65], v[118:119], v[8:9]
	scratch_load_b128 v[118:121], off, off offset:64 th:TH_LOAD_LU ; 16-byte Folded Reload
	v_fma_f64 v[60:61], v[116:117], v[8:9], v[62:63]
	v_fma_f64 v[62:63], v[116:117], v[10:11], -v[64:65]
	v_mul_f64_e32 v[8:9], s[6:7], v[58:59]
	s_delay_alu instid0(VALU_DEP_3)
	v_mul_f64_e32 v[10:11], s[6:7], v[60:61]
	s_wait_loadcnt 0x0
	v_mul_f64_e32 v[66:67], v[120:121], v[14:15]
	v_mul_f64_e32 v[68:69], v[120:121], v[12:13]
	scratch_load_b128 v[120:123], off, off offset:80 th:TH_LOAD_LU ; 16-byte Folded Reload
	;; [unrolled: 9-line block ×8, first 2 shown]
	v_fma_f64 v[88:89], v[130:131], v[36:37], v[90:91]
	v_fma_f64 v[90:91], v[130:131], v[38:39], -v[92:93]
	v_fma_f64 v[92:93], v[136:137], v[40:41], v[94:95]
	v_fma_f64 v[94:95], v[136:137], v[42:43], -v[96:97]
	v_mul_f64_e32 v[36:37], s[6:7], v[86:87]
	v_mul_f64_e32 v[38:39], s[6:7], v[88:89]
	;; [unrolled: 1-line block ×4, first 2 shown]
	s_wait_loadcnt 0x0
	v_mul_f64_e32 v[98:99], v[134:135], v[46:47]
	v_mul_f64_e32 v[100:101], v[134:135], v[44:45]
	s_delay_alu instid0(VALU_DEP_2) | instskip(NEXT) | instid1(VALU_DEP_2)
	v_fma_f64 v[96:97], v[132:133], v[44:45], v[98:99]
	v_fma_f64 v[98:99], v[132:133], v[46:47], -v[100:101]
	v_fma_f64 v[100:101], v[138:139], v[48:49], v[102:103]
	v_fma_f64 v[102:103], v[138:139], v[50:51], -v[104:105]
	v_add_co_u32 v104, s0, v110, s2
	v_mul_f64_e32 v[44:45], s[6:7], v[94:95]
	s_wait_alu 0xf1ff
	v_add_co_ci_u32_e64 v105, s0, s3, v111, s0
	s_delay_alu instid0(VALU_DEP_3) | instskip(SKIP_1) | instid1(VALU_DEP_2)
	v_add_co_u32 v112, s0, v104, s2
	s_wait_alu 0xf1ff
	v_add_co_ci_u32_e64 v113, s0, s3, v105, s0
	s_delay_alu instid0(VALU_DEP_2) | instskip(SKIP_1) | instid1(VALU_DEP_2)
	v_add_co_u32 v114, s0, v112, s2
	s_wait_alu 0xf1ff
	v_add_co_ci_u32_e64 v115, s0, s3, v113, s0
	s_delay_alu instid0(VALU_DEP_2) | instskip(SKIP_1) | instid1(VALU_DEP_2)
	;; [unrolled: 4-line block ×5, first 2 shown]
	v_add_co_u32 v62, s0, v60, s2
	s_wait_alu 0xf1ff
	v_add_co_ci_u32_e64 v63, s0, s3, v61, s0
	s_delay_alu instid0(VALU_DEP_2)
	v_add_co_u32 v64, s0, v62, s2
	v_mul_f64_e32 v[46:47], s[6:7], v[96:97]
	v_mul_f64_e32 v[48:49], s[6:7], v[98:99]
	v_mul_f64_e32 v[50:51], s[6:7], v[100:101]
	v_mul_f64_e32 v[52:53], s[6:7], v[102:103]
	s_wait_alu 0xf1ff
	v_add_co_ci_u32_e64 v65, s0, s3, v63, s0
	v_add_co_u32 v0, s0, v64, s2
	s_wait_alu 0xf1ff
	s_delay_alu instid0(VALU_DEP_2)
	v_add_co_ci_u32_e64 v1, s0, s3, v65, s0
	s_clause 0x4
	global_store_b128 v[54:55], v[2:5], off
	global_store_b128 v[106:107], v[6:9], off
	;; [unrolled: 1-line block ×13, first 2 shown]
	s_and_b32 exec_lo, exec_lo, vcc_lo
	s_cbranch_execz .LBB0_23
; %bb.22:
	scratch_load_b64 v[16:17], off, off th:TH_LOAD_LU ; 8-byte Folded Reload
	ds_load_b128 v[6:9], v181 offset:1456
	v_mad_co_u64_u32 v[12:13], null, 0xffffb6f0, s4, v[0:1]
	s_mul_i32 s0, s5, 0xffffb6f0
	s_wait_alu 0xfffe
	s_sub_co_i32 s0, s0, s4
	s_wait_alu 0xfffe
	s_delay_alu instid0(VALU_DEP_1)
	v_add_nc_u32_e32 v13, s0, v13
	s_wait_loadcnt 0x0
	global_load_b128 v[2:5], v[16:17], off offset:1456
	s_wait_loadcnt_dscnt 0x0
	v_mul_f64_e32 v[10:11], v[8:9], v[4:5]
	v_mul_f64_e32 v[4:5], v[6:7], v[4:5]
	s_delay_alu instid0(VALU_DEP_2) | instskip(NEXT) | instid1(VALU_DEP_2)
	v_fma_f64 v[6:7], v[6:7], v[2:3], v[10:11]
	v_fma_f64 v[4:5], v[2:3], v[8:9], -v[4:5]
	s_delay_alu instid0(VALU_DEP_2) | instskip(NEXT) | instid1(VALU_DEP_2)
	v_mul_f64_e32 v[2:3], s[6:7], v[6:7]
	v_mul_f64_e32 v[4:5], s[6:7], v[4:5]
	global_store_b128 v[12:13], v[2:5], off
	global_load_b128 v[0:3], v[16:17], off offset:3136
	ds_load_b128 v[4:7], v180 offset:3136
	ds_load_b128 v[8:11], v180 offset:4816
	s_wait_loadcnt_dscnt 0x1
	v_mul_f64_e32 v[14:15], v[6:7], v[2:3]
	v_mul_f64_e32 v[2:3], v[4:5], v[2:3]
	s_delay_alu instid0(VALU_DEP_2) | instskip(NEXT) | instid1(VALU_DEP_2)
	v_fma_f64 v[4:5], v[4:5], v[0:1], v[14:15]
	v_fma_f64 v[2:3], v[0:1], v[6:7], -v[2:3]
	s_delay_alu instid0(VALU_DEP_2) | instskip(NEXT) | instid1(VALU_DEP_2)
	v_mul_f64_e32 v[0:1], s[6:7], v[4:5]
	v_mul_f64_e32 v[2:3], s[6:7], v[2:3]
	v_add_co_u32 v4, vcc_lo, v12, s2
	s_wait_alu 0xfffd
	v_add_co_ci_u32_e32 v5, vcc_lo, s3, v13, vcc_lo
	s_delay_alu instid0(VALU_DEP_2) | instskip(SKIP_1) | instid1(VALU_DEP_2)
	v_add_co_u32 v12, vcc_lo, v4, s2
	s_wait_alu 0xfffd
	v_add_co_ci_u32_e32 v13, vcc_lo, s3, v5, vcc_lo
	global_store_b128 v[4:5], v[0:3], off
	global_load_b128 v[0:3], v[16:17], off offset:4816
	s_wait_loadcnt_dscnt 0x0
	v_mul_f64_e32 v[6:7], v[10:11], v[2:3]
	v_mul_f64_e32 v[2:3], v[8:9], v[2:3]
	s_delay_alu instid0(VALU_DEP_2) | instskip(NEXT) | instid1(VALU_DEP_2)
	v_fma_f64 v[6:7], v[8:9], v[0:1], v[6:7]
	v_fma_f64 v[2:3], v[0:1], v[10:11], -v[2:3]
	s_delay_alu instid0(VALU_DEP_2) | instskip(NEXT) | instid1(VALU_DEP_2)
	v_mul_f64_e32 v[0:1], s[6:7], v[6:7]
	v_mul_f64_e32 v[2:3], s[6:7], v[2:3]
	global_store_b128 v[12:13], v[0:3], off
	global_load_b128 v[0:3], v[16:17], off offset:6496
	ds_load_b128 v[4:7], v180 offset:6496
	ds_load_b128 v[8:11], v180 offset:8176
	s_wait_loadcnt_dscnt 0x1
	v_mul_f64_e32 v[14:15], v[6:7], v[2:3]
	v_mul_f64_e32 v[2:3], v[4:5], v[2:3]
	s_delay_alu instid0(VALU_DEP_2) | instskip(NEXT) | instid1(VALU_DEP_2)
	v_fma_f64 v[4:5], v[4:5], v[0:1], v[14:15]
	v_fma_f64 v[2:3], v[0:1], v[6:7], -v[2:3]
	s_delay_alu instid0(VALU_DEP_2) | instskip(NEXT) | instid1(VALU_DEP_2)
	v_mul_f64_e32 v[0:1], s[6:7], v[4:5]
	v_mul_f64_e32 v[2:3], s[6:7], v[2:3]
	v_add_co_u32 v4, vcc_lo, v12, s2
	s_wait_alu 0xfffd
	v_add_co_ci_u32_e32 v5, vcc_lo, s3, v13, vcc_lo
	s_delay_alu instid0(VALU_DEP_2) | instskip(SKIP_1) | instid1(VALU_DEP_2)
	v_add_co_u32 v12, vcc_lo, v4, s2
	s_wait_alu 0xfffd
	v_add_co_ci_u32_e32 v13, vcc_lo, s3, v5, vcc_lo
	global_store_b128 v[4:5], v[0:3], off
	;; [unrolled: 31-line block ×5, first 2 shown]
	global_load_b128 v[0:3], v[16:17], off offset:18256
	s_wait_loadcnt_dscnt 0x0
	v_mul_f64_e32 v[6:7], v[10:11], v[2:3]
	v_mul_f64_e32 v[2:3], v[8:9], v[2:3]
	s_delay_alu instid0(VALU_DEP_2) | instskip(NEXT) | instid1(VALU_DEP_2)
	v_fma_f64 v[6:7], v[8:9], v[0:1], v[6:7]
	v_fma_f64 v[2:3], v[0:1], v[10:11], -v[2:3]
	s_delay_alu instid0(VALU_DEP_2) | instskip(NEXT) | instid1(VALU_DEP_2)
	v_mul_f64_e32 v[0:1], s[6:7], v[6:7]
	v_mul_f64_e32 v[2:3], s[6:7], v[2:3]
	global_store_b128 v[12:13], v[0:3], off
	global_load_b128 v[0:3], v[16:17], off offset:19936
	ds_load_b128 v[4:7], v180 offset:19936
	ds_load_b128 v[8:11], v180 offset:21616
	s_wait_loadcnt_dscnt 0x1
	v_mul_f64_e32 v[14:15], v[6:7], v[2:3]
	v_mul_f64_e32 v[2:3], v[4:5], v[2:3]
	s_delay_alu instid0(VALU_DEP_2) | instskip(NEXT) | instid1(VALU_DEP_2)
	v_fma_f64 v[4:5], v[4:5], v[0:1], v[14:15]
	v_fma_f64 v[2:3], v[0:1], v[6:7], -v[2:3]
	s_delay_alu instid0(VALU_DEP_2) | instskip(NEXT) | instid1(VALU_DEP_2)
	v_mul_f64_e32 v[0:1], s[6:7], v[4:5]
	v_mul_f64_e32 v[2:3], s[6:7], v[2:3]
	v_add_co_u32 v4, vcc_lo, v12, s2
	s_wait_alu 0xfffd
	v_add_co_ci_u32_e32 v5, vcc_lo, s3, v13, vcc_lo
	global_store_b128 v[4:5], v[0:3], off
	global_load_b128 v[0:3], v[16:17], off offset:21616
	v_add_co_u32 v4, vcc_lo, v4, s2
	s_wait_alu 0xfffd
	v_add_co_ci_u32_e32 v5, vcc_lo, s3, v5, vcc_lo
	s_wait_loadcnt_dscnt 0x0
	v_mul_f64_e32 v[6:7], v[10:11], v[2:3]
	v_mul_f64_e32 v[2:3], v[8:9], v[2:3]
	s_delay_alu instid0(VALU_DEP_2) | instskip(NEXT) | instid1(VALU_DEP_2)
	v_fma_f64 v[6:7], v[8:9], v[0:1], v[6:7]
	v_fma_f64 v[2:3], v[0:1], v[10:11], -v[2:3]
	s_delay_alu instid0(VALU_DEP_2) | instskip(NEXT) | instid1(VALU_DEP_2)
	v_mul_f64_e32 v[0:1], s[6:7], v[6:7]
	v_mul_f64_e32 v[2:3], s[6:7], v[2:3]
	global_store_b128 v[4:5], v[0:3], off
.LBB0_23:
	s_nop 0
	s_sendmsg sendmsg(MSG_DEALLOC_VGPRS)
	s_endpgm
	.section	.rodata,"a",@progbits
	.p2align	6, 0x0
	.amdhsa_kernel bluestein_single_back_len1365_dim1_dp_op_CI_CI
		.amdhsa_group_segment_fixed_size 43680
		.amdhsa_private_segment_fixed_size 848
		.amdhsa_kernarg_size 104
		.amdhsa_user_sgpr_count 2
		.amdhsa_user_sgpr_dispatch_ptr 0
		.amdhsa_user_sgpr_queue_ptr 0
		.amdhsa_user_sgpr_kernarg_segment_ptr 1
		.amdhsa_user_sgpr_dispatch_id 0
		.amdhsa_user_sgpr_private_segment_size 0
		.amdhsa_wavefront_size32 1
		.amdhsa_uses_dynamic_stack 0
		.amdhsa_enable_private_segment 1
		.amdhsa_system_sgpr_workgroup_id_x 1
		.amdhsa_system_sgpr_workgroup_id_y 0
		.amdhsa_system_sgpr_workgroup_id_z 0
		.amdhsa_system_sgpr_workgroup_info 0
		.amdhsa_system_vgpr_workitem_id 0
		.amdhsa_next_free_vgpr 256
		.amdhsa_next_free_sgpr 48
		.amdhsa_reserve_vcc 1
		.amdhsa_float_round_mode_32 0
		.amdhsa_float_round_mode_16_64 0
		.amdhsa_float_denorm_mode_32 3
		.amdhsa_float_denorm_mode_16_64 3
		.amdhsa_fp16_overflow 0
		.amdhsa_workgroup_processor_mode 1
		.amdhsa_memory_ordered 1
		.amdhsa_forward_progress 0
		.amdhsa_round_robin_scheduling 0
		.amdhsa_exception_fp_ieee_invalid_op 0
		.amdhsa_exception_fp_denorm_src 0
		.amdhsa_exception_fp_ieee_div_zero 0
		.amdhsa_exception_fp_ieee_overflow 0
		.amdhsa_exception_fp_ieee_underflow 0
		.amdhsa_exception_fp_ieee_inexact 0
		.amdhsa_exception_int_div_zero 0
	.end_amdhsa_kernel
	.text
.Lfunc_end0:
	.size	bluestein_single_back_len1365_dim1_dp_op_CI_CI, .Lfunc_end0-bluestein_single_back_len1365_dim1_dp_op_CI_CI
                                        ; -- End function
	.section	.AMDGPU.csdata,"",@progbits
; Kernel info:
; codeLenInByte = 33084
; NumSgprs: 50
; NumVgprs: 256
; ScratchSize: 848
; MemoryBound: 0
; FloatMode: 240
; IeeeMode: 1
; LDSByteSize: 43680 bytes/workgroup (compile time only)
; SGPRBlocks: 6
; VGPRBlocks: 31
; NumSGPRsForWavesPerEU: 50
; NumVGPRsForWavesPerEU: 256
; Occupancy: 5
; WaveLimiterHint : 1
; COMPUTE_PGM_RSRC2:SCRATCH_EN: 1
; COMPUTE_PGM_RSRC2:USER_SGPR: 2
; COMPUTE_PGM_RSRC2:TRAP_HANDLER: 0
; COMPUTE_PGM_RSRC2:TGID_X_EN: 1
; COMPUTE_PGM_RSRC2:TGID_Y_EN: 0
; COMPUTE_PGM_RSRC2:TGID_Z_EN: 0
; COMPUTE_PGM_RSRC2:TIDIG_COMP_CNT: 0
	.text
	.p2alignl 7, 3214868480
	.fill 96, 4, 3214868480
	.type	__hip_cuid_78cc38b397bed976,@object ; @__hip_cuid_78cc38b397bed976
	.section	.bss,"aw",@nobits
	.globl	__hip_cuid_78cc38b397bed976
__hip_cuid_78cc38b397bed976:
	.byte	0                               ; 0x0
	.size	__hip_cuid_78cc38b397bed976, 1

	.ident	"AMD clang version 19.0.0git (https://github.com/RadeonOpenCompute/llvm-project roc-6.4.0 25133 c7fe45cf4b819c5991fe208aaa96edf142730f1d)"
	.section	".note.GNU-stack","",@progbits
	.addrsig
	.addrsig_sym __hip_cuid_78cc38b397bed976
	.amdgpu_metadata
---
amdhsa.kernels:
  - .args:
      - .actual_access:  read_only
        .address_space:  global
        .offset:         0
        .size:           8
        .value_kind:     global_buffer
      - .actual_access:  read_only
        .address_space:  global
        .offset:         8
        .size:           8
        .value_kind:     global_buffer
      - .actual_access:  read_only
        .address_space:  global
        .offset:         16
        .size:           8
        .value_kind:     global_buffer
      - .actual_access:  read_only
        .address_space:  global
        .offset:         24
        .size:           8
        .value_kind:     global_buffer
      - .actual_access:  read_only
        .address_space:  global
        .offset:         32
        .size:           8
        .value_kind:     global_buffer
      - .offset:         40
        .size:           8
        .value_kind:     by_value
      - .address_space:  global
        .offset:         48
        .size:           8
        .value_kind:     global_buffer
      - .address_space:  global
        .offset:         56
        .size:           8
        .value_kind:     global_buffer
      - .address_space:  global
        .offset:         64
        .size:           8
        .value_kind:     global_buffer
      - .address_space:  global
        .offset:         72
        .size:           8
        .value_kind:     global_buffer
      - .offset:         80
        .size:           4
        .value_kind:     by_value
      - .address_space:  global
        .offset:         88
        .size:           8
        .value_kind:     global_buffer
      - .address_space:  global
        .offset:         96
        .size:           8
        .value_kind:     global_buffer
    .group_segment_fixed_size: 43680
    .kernarg_segment_align: 8
    .kernarg_segment_size: 104
    .language:       OpenCL C
    .language_version:
      - 2
      - 0
    .max_flat_workgroup_size: 182
    .name:           bluestein_single_back_len1365_dim1_dp_op_CI_CI
    .private_segment_fixed_size: 848
    .sgpr_count:     50
    .sgpr_spill_count: 0
    .symbol:         bluestein_single_back_len1365_dim1_dp_op_CI_CI.kd
    .uniform_work_group_size: 1
    .uses_dynamic_stack: false
    .vgpr_count:     256
    .vgpr_spill_count: 211
    .wavefront_size: 32
    .workgroup_processor_mode: 1
amdhsa.target:   amdgcn-amd-amdhsa--gfx1201
amdhsa.version:
  - 1
  - 2
...

	.end_amdgpu_metadata
